;; amdgpu-corpus repo=pytorch/pytorch kind=compiled arch=gfx1250 opt=O3
	.amdgcn_target "amdgcn-amd-amdhsa--gfx1250"
	.amdhsa_code_object_version 6
	.section	.text._ZN2at6native14vol2col_kernelIdEEvlPKT_iiiiiiiiiiiiiiiiiiPS2_,"axG",@progbits,_ZN2at6native14vol2col_kernelIdEEvlPKT_iiiiiiiiiiiiiiiiiiPS2_,comdat
	.protected	_ZN2at6native14vol2col_kernelIdEEvlPKT_iiiiiiiiiiiiiiiiiiPS2_ ; -- Begin function _ZN2at6native14vol2col_kernelIdEEvlPKT_iiiiiiiiiiiiiiiiiiPS2_
	.globl	_ZN2at6native14vol2col_kernelIdEEvlPKT_iiiiiiiiiiiiiiiiiiPS2_
	.p2align	8
	.type	_ZN2at6native14vol2col_kernelIdEEvlPKT_iiiiiiiiiiiiiiiiiiPS2_,@function
_ZN2at6native14vol2col_kernelIdEEvlPKT_iiiiiiiiiiiiiiiiiiPS2_: ; @_ZN2at6native14vol2col_kernelIdEEvlPKT_iiiiiiiiiiiiiiiiiiPS2_
; %bb.0:
	s_clause 0x1
	s_load_b32 s2, s[0:1], 0x6c
	s_load_b128 s[20:23], s[0:1], 0x0
	s_bfe_u32 s3, ttmp6, 0x4000c
	v_mov_b32_e32 v2, 0
	s_add_co_i32 s3, s3, 1
	s_and_b32 s4, ttmp6, 15
	s_mul_i32 s3, ttmp9, s3
	s_getreg_b32 s5, hwreg(HW_REG_IB_STS2, 6, 4)
	v_mov_b32_e32 v1, v2
	s_add_co_i32 s4, s4, s3
	s_mov_b32 s29, 0
	s_wait_kmcnt 0x0
	s_and_b32 s2, s2, 0xffff
	s_cmp_eq_u32 s5, 0
	s_cselect_b32 s3, ttmp9, s4
	s_delay_alu instid0(SALU_CYCLE_1) | instskip(SKIP_1) | instid1(VALU_DEP_1)
	v_mad_nc_u64_u32 v[0:1], s2, s3, v[0:1]
	s_mov_b32 s3, exec_lo
	v_cmpx_gt_i64_e64 s[20:21], v[0:1]
	s_cbranch_execz .LBB0_26
; %bb.1:
	s_clause 0x1
	s_load_b512 s[4:19], s[0:1], 0x10
	s_load_b128 s[24:27], s[0:1], 0x50
	s_wait_xcnt 0x0
	s_add_nc_u64 s[0:1], s[0:1], 0x60
	v_mov_b64_e32 v[4:5], s[22:23]
	s_load_b32 s3, s[0:1], 0x0
	s_mov_b32 s56, 0
	s_wait_kmcnt 0x0
	s_ashr_i32 s1, s7, 31
	s_mov_b32 s30, s25
	s_mov_b32 s0, s7
	v_cvt_f32_u32_e32 v3, s30
	s_ashr_i32 s47, s8, 31
	s_mov_b32 s46, s8
	s_ashr_i32 s49, s9, 31
	s_mov_b32 s48, s9
	v_rcp_iflag_f32_e32 v3, v3
	s_mul_u64 s[0:1], s[46:47], s[0:1]
	s_ashr_i32 s31, s25, 31
	s_ashr_i32 s35, s24, 31
	;; [unrolled: 1-line block ×4, first 2 shown]
	s_mov_b32 s38, s13
	s_ashr_i32 s41, s10, 31
	s_mov_b32 s40, s10
	s_ashr_i32 s43, s14, 31
	;; [unrolled: 2-line block ×5, first 2 shown]
	s_mul_u64 s[14:15], s[0:1], s[48:49]
	s_ashr_i32 s47, s4, 31
	s_ashr_i32 s49, s5, 31
	;; [unrolled: 1-line block ×3, first 2 shown]
	s_cmp_gt_i32 s7, 0
	v_nop
	v_mul_f32_e32 v3, 0x4f7ffffe, v3
	s_mul_i32 s28, s24, s19
	s_mov_b32 s36, s19
	s_cselect_b32 s19, -1, 0
	s_cmp_gt_i32 s8, 0
	v_mov_b64_e32 v[6:7], s[26:27]
	s_cselect_b32 s33, -1, 0
	s_cmp_gt_i32 s9, 0
	s_mul_i32 s0, s28, s25
	v_cvt_u32_f32_e32 v16, v3
	s_cselect_b32 s54, -1, 0
	s_ashr_i32 s1, s0, 31
	s_mul_i32 s55, s16, s6
	s_mov_b32 s34, s24
	s_mov_b32 s46, s4
	;; [unrolled: 1-line block ×4, first 2 shown]
	s_mul_i32 s24, s3, s2
	s_mov_b32 s25, s29
	s_lshl_b64 s[52:53], s[0:1], 3
	s_mul_i32 s55, s55, s5
	s_mov_b64 s[4:5], 0xffffffff
	s_mul_i32 s6, s17, s6
	s_ashr_i32 s22, s31, 31
	s_branch .LBB0_3
.LBB0_2:                                ;   in Loop: Header=BB0_3 Depth=1
	v_add_nc_u64_e32 v[0:1], s[24:25], v[0:1]
	s_delay_alu instid0(VALU_DEP_1) | instskip(SKIP_1) | instid1(SALU_CYCLE_1)
	v_cmp_le_i64_e32 vcc_lo, s[20:21], v[0:1]
	s_or_b32 s56, vcc_lo, s56
	s_and_not1_b32 exec_lo, exec_lo, s56
	s_cbranch_execz .LBB0_26
.LBB0_3:                                ; =>This Loop Header: Depth=1
                                        ;     Child Loop BB0_18 Depth 2
                                        ;       Child Loop BB0_21 Depth 3
                                        ;         Child Loop BB0_24 Depth 4
	v_or_b32_e32 v3, s31, v1
                                        ; implicit-def: $vgpr8_vgpr9
	s_mov_b32 s0, exec_lo
	s_delay_alu instid0(VALU_DEP_1)
	v_cmpx_ne_u64_e32 0, v[2:3]
	s_xor_b32 s1, exec_lo, s0
	s_cbranch_execz .LBB0_5
; %bb.4:                                ;   in Loop: Header=BB0_3 Depth=1
	s_mov_b32 s23, s22
	v_dual_mov_b32 v13, v2 :: v_dual_ashrrev_i32 v8, 31, v1
	s_add_nc_u64 s[2:3], s[30:31], s[22:23]
	v_mov_b32_e32 v23, v2
	s_xor_b64 s[2:3], s[2:3], s[22:23]
	s_delay_alu instid0(VALU_DEP_2) | instskip(SKIP_3) | instid1(VALU_DEP_1)
	v_mov_b32_e32 v9, v8
	s_cvt_f32_u32 s0, s2
	s_cvt_f32_u32 s23, s3
	s_sub_nc_u64 s[58:59], 0, s[2:3]
	v_add_nc_u64_e32 v[10:11], v[0:1], v[8:9]
	s_delay_alu instid0(SALU_CYCLE_1) | instskip(SKIP_1) | instid1(SALU_CYCLE_2)
	s_fmamk_f32 s0, s23, 0x4f800000, s0
	v_mov_b32_e32 v19, v2
	v_s_rcp_f32 s0, s0
	s_delay_alu instid0(VALU_DEP_2) | instskip(NEXT) | instid1(VALU_DEP_3)
	v_xor_b32_e32 v12, v10, v8
	v_xor_b32_e32 v18, v11, v8
	s_delay_alu instid0(TRANS32_DEP_1) | instskip(NEXT) | instid1(SALU_CYCLE_3)
	s_mul_f32 s0, s0, 0x5f7ffffc
	s_mul_f32 s23, s0, 0x2f800000
	s_delay_alu instid0(SALU_CYCLE_3) | instskip(NEXT) | instid1(SALU_CYCLE_3)
	s_trunc_f32 s23, s23
	s_fmamk_f32 s0, s23, 0xcf800000, s0
	s_cvt_u32_f32 s27, s23
	s_delay_alu instid0(SALU_CYCLE_2) | instskip(NEXT) | instid1(SALU_CYCLE_3)
	s_cvt_u32_f32 s26, s0
	s_mul_u64 s[60:61], s[58:59], s[26:27]
	s_delay_alu instid0(SALU_CYCLE_1)
	s_mul_hi_u32 s63, s26, s61
	s_mul_i32 s62, s26, s61
	s_mul_hi_u32 s28, s26, s60
	s_mul_i32 s23, s27, s60
	s_add_nc_u64 s[62:63], s[28:29], s[62:63]
	s_mul_hi_u32 s0, s27, s60
	s_mul_hi_u32 s57, s27, s61
	s_add_co_u32 s23, s62, s23
	s_add_co_ci_u32 s28, s63, s0
	s_mul_i32 s60, s27, s61
	s_add_co_ci_u32 s61, s57, 0
	s_delay_alu instid0(SALU_CYCLE_1) | instskip(NEXT) | instid1(SALU_CYCLE_1)
	s_add_nc_u64 s[60:61], s[28:29], s[60:61]
	s_add_co_u32 s26, s26, s60
	s_cselect_b32 s0, -1, 0
	s_delay_alu instid0(SALU_CYCLE_1) | instskip(SKIP_1) | instid1(SALU_CYCLE_1)
	s_cmp_lg_u32 s0, 0
	s_add_co_ci_u32 s27, s27, s61
	s_mul_u64 s[58:59], s[58:59], s[26:27]
	s_delay_alu instid0(SALU_CYCLE_1)
	s_mul_hi_u32 s61, s26, s59
	s_mul_i32 s60, s26, s59
	s_mul_hi_u32 s28, s26, s58
	s_mul_i32 s23, s27, s58
	s_add_nc_u64 s[60:61], s[28:29], s[60:61]
	s_mul_hi_u32 s0, s27, s58
	s_mul_hi_u32 s57, s27, s59
	s_add_co_u32 s23, s60, s23
	s_add_co_ci_u32 s28, s61, s0
	s_mul_i32 s58, s27, s59
	s_add_co_ci_u32 s59, s57, 0
	s_delay_alu instid0(SALU_CYCLE_1) | instskip(NEXT) | instid1(SALU_CYCLE_1)
	s_add_nc_u64 s[58:59], s[28:29], s[58:59]
	s_add_co_u32 s0, s26, s58
	s_cselect_b32 s23, -1, 0
	v_mul_hi_u32 v22, v12, s0
	s_cmp_lg_u32 s23, 0
	s_add_co_ci_u32 s28, s27, s59
	s_and_b64 s[26:27], s[0:1], s[4:5]
	v_mul_u64_e32 v[14:15], s[28:29], v[12:13]
	v_mul_u64_e32 v[10:11], s[26:27], v[18:19]
	;; [unrolled: 1-line block ×3, first 2 shown]
	s_delay_alu instid0(VALU_DEP_3) | instskip(NEXT) | instid1(VALU_DEP_1)
	v_add_nc_u64_e32 v[14:15], v[22:23], v[14:15]
	v_add_co_u32 v3, vcc_lo, v14, v10
	s_delay_alu instid0(VALU_DEP_2) | instskip(NEXT) | instid1(VALU_DEP_4)
	v_add_co_ci_u32_e32 v22, vcc_lo, v15, v11, vcc_lo
	v_add_co_ci_u32_e32 v21, vcc_lo, 0, v21, vcc_lo
	s_delay_alu instid0(VALU_DEP_1) | instskip(NEXT) | instid1(VALU_DEP_1)
	v_add_nc_u64_e32 v[10:11], v[22:23], v[20:21]
	v_mul_u64_e32 v[14:15], s[2:3], v[10:11]
	s_delay_alu instid0(VALU_DEP_1) | instskip(NEXT) | instid1(VALU_DEP_2)
	v_sub_nc_u32_e32 v3, v18, v15
	v_sub_co_u32 v9, vcc_lo, v12, v14
	s_delay_alu instid0(VALU_DEP_1) | instskip(NEXT) | instid1(VALU_DEP_3)
	v_sub_co_ci_u32_e64 v17, null, v18, v15, vcc_lo
	v_subrev_co_ci_u32_e64 v3, null, s3, v3, vcc_lo
	s_delay_alu instid0(VALU_DEP_3) | instskip(SKIP_1) | instid1(VALU_DEP_3)
	v_sub_co_u32 v12, s0, v9, s2
	v_add_nc_u64_e32 v[14:15], 1, v[10:11]
	v_subrev_co_ci_u32_e64 v3, null, 0, v3, s0
	s_delay_alu instid0(VALU_DEP_3) | instskip(SKIP_1) | instid1(VALU_DEP_3)
	v_cmp_le_u32_e32 vcc_lo, s2, v12
	v_cndmask_b32_e64 v12, 0, -1, vcc_lo
	v_cmp_le_u32_e32 vcc_lo, s3, v3
	v_cndmask_b32_e64 v13, 0, -1, vcc_lo
	;; [unrolled: 2-line block ×4, first 2 shown]
	v_cmp_eq_u32_e32 vcc_lo, s3, v3
	v_cndmask_b32_e32 v3, v13, v12, vcc_lo
	v_cmp_eq_u32_e32 vcc_lo, s3, v17
	v_add_nc_u64_e32 v[12:13], 2, v[10:11]
	v_cndmask_b32_e32 v9, v18, v9, vcc_lo
	s_delay_alu instid0(VALU_DEP_4) | instskip(NEXT) | instid1(VALU_DEP_2)
	v_cmp_ne_u32_e32 vcc_lo, 0, v3
	v_cmp_ne_u32_e64 s0, 0, v9
	s_delay_alu instid0(VALU_DEP_4) | instskip(NEXT) | instid1(VALU_DEP_1)
	v_dual_cndmask_b32 v3, v15, v13, vcc_lo :: v_dual_cndmask_b32 v9, v14, v12, vcc_lo
	v_dual_cndmask_b32 v3, v11, v3, s0 :: v_dual_bitop2_b32 v8, s22, v8 bitop3:0x14
	s_delay_alu instid0(VALU_DEP_1) | instskip(NEXT) | instid1(VALU_DEP_2)
	v_dual_cndmask_b32 v10, v10, v9, s0 :: v_dual_mov_b32 v9, v8
	v_xor_b32_e32 v11, v3, v8
	s_delay_alu instid0(VALU_DEP_2) | instskip(NEXT) | instid1(VALU_DEP_1)
	v_xor_b32_e32 v10, v10, v8
	v_sub_nc_u64_e32 v[8:9], v[10:11], v[8:9]
.LBB0_5:                                ;   in Loop: Header=BB0_3 Depth=1
	s_and_not1_saveexec_b32 s0, s1
	s_cbranch_execz .LBB0_7
; %bb.6:                                ;   in Loop: Header=BB0_3 Depth=1
	s_sub_co_i32 s1, 0, s30
	s_delay_alu instid0(SALU_CYCLE_1) | instskip(NEXT) | instid1(VALU_DEP_1)
	v_mul_lo_u32 v3, s1, v16
	v_mul_hi_u32 v3, v16, v3
	s_delay_alu instid0(VALU_DEP_1) | instskip(NEXT) | instid1(VALU_DEP_1)
	v_add_nc_u32_e32 v3, v16, v3
	v_mul_hi_u32 v3, v0, v3
	s_delay_alu instid0(VALU_DEP_1) | instskip(NEXT) | instid1(VALU_DEP_1)
	v_mul_lo_u32 v8, v3, s30
	v_dual_add_nc_u32 v9, 1, v3 :: v_dual_sub_nc_u32 v8, v0, v8
	s_delay_alu instid0(VALU_DEP_1) | instskip(SKIP_1) | instid1(VALU_DEP_2)
	v_subrev_nc_u32_e32 v10, s30, v8
	v_cmp_le_u32_e32 vcc_lo, s30, v8
	v_dual_cndmask_b32 v8, v8, v10 :: v_dual_cndmask_b32 v3, v3, v9
	s_delay_alu instid0(VALU_DEP_1) | instskip(NEXT) | instid1(VALU_DEP_2)
	v_cmp_le_u32_e32 vcc_lo, s30, v8
	v_add_nc_u32_e32 v9, 1, v3
	s_delay_alu instid0(VALU_DEP_1)
	v_dual_cndmask_b32 v8, v3, v9 :: v_dual_mov_b32 v9, v2
.LBB0_7:                                ;   in Loop: Header=BB0_3 Depth=1
	s_or_b32 exec_lo, exec_lo, s0
	s_delay_alu instid0(VALU_DEP_1) | instskip(SKIP_1) | instid1(VALU_DEP_1)
	v_or_b32_e32 v3, s35, v9
                                        ; implicit-def: $vgpr10_vgpr11
	s_mov_b32 s0, exec_lo
	v_cmpx_ne_u64_e32 0, v[2:3]
	s_xor_b32 s1, exec_lo, s0
	s_cbranch_execz .LBB0_9
; %bb.8:                                ;   in Loop: Header=BB0_3 Depth=1
	s_ashr_i32 s2, s35, 31
	v_dual_mov_b32 v15, v2 :: v_dual_ashrrev_i32 v10, 31, v9
	s_mov_b32 s3, s2
	s_delay_alu instid0(SALU_CYCLE_1) | instskip(NEXT) | instid1(VALU_DEP_1)
	s_add_nc_u64 s[26:27], s[34:35], s[2:3]
	v_mov_b32_e32 v11, v10
	s_xor_b64 s[26:27], s[26:27], s[2:3]
	s_delay_alu instid0(SALU_CYCLE_1)
	s_cvt_f32_u32 s0, s26
	s_cvt_f32_u32 s3, s27
	s_sub_nc_u64 s[60:61], 0, s[26:27]
	v_add_nc_u64_e32 v[12:13], v[8:9], v[10:11]
	v_mov_b32_e32 v21, v2
	s_fmamk_f32 s0, s3, 0x4f800000, s0
	s_delay_alu instid0(SALU_CYCLE_3) | instskip(NEXT) | instid1(VALU_DEP_2)
	v_s_rcp_f32 s0, s0
	v_xor_b32_e32 v14, v12, v10
	s_delay_alu instid0(VALU_DEP_3) | instskip(NEXT) | instid1(TRANS32_DEP_1)
	v_dual_mov_b32 v25, v2 :: v_dual_bitop2_b32 v20, v13, v10 bitop3:0x14
	s_mul_f32 s0, s0, 0x5f7ffffc
	s_delay_alu instid0(SALU_CYCLE_3) | instskip(NEXT) | instid1(SALU_CYCLE_3)
	s_mul_f32 s3, s0, 0x2f800000
	s_trunc_f32 s3, s3
	s_delay_alu instid0(SALU_CYCLE_3) | instskip(SKIP_1) | instid1(SALU_CYCLE_2)
	s_fmamk_f32 s0, s3, 0xcf800000, s0
	s_cvt_u32_f32 s59, s3
	s_cvt_u32_f32 s58, s0
	s_delay_alu instid0(SALU_CYCLE_3) | instskip(NEXT) | instid1(SALU_CYCLE_1)
	s_mul_u64 s[62:63], s[60:61], s[58:59]
	s_mul_hi_u32 s65, s58, s63
	s_mul_i32 s64, s58, s63
	s_mul_hi_u32 s28, s58, s62
	s_mul_i32 s3, s59, s62
	s_add_nc_u64 s[64:65], s[28:29], s[64:65]
	s_mul_hi_u32 s0, s59, s62
	s_mul_hi_u32 s23, s59, s63
	s_add_co_u32 s3, s64, s3
	s_add_co_ci_u32 s28, s65, s0
	s_mul_i32 s62, s59, s63
	s_add_co_ci_u32 s63, s23, 0
	s_delay_alu instid0(SALU_CYCLE_1) | instskip(NEXT) | instid1(SALU_CYCLE_1)
	s_add_nc_u64 s[62:63], s[28:29], s[62:63]
	s_add_co_u32 s58, s58, s62
	s_cselect_b32 s0, -1, 0
	s_delay_alu instid0(SALU_CYCLE_1) | instskip(SKIP_1) | instid1(SALU_CYCLE_1)
	s_cmp_lg_u32 s0, 0
	s_add_co_ci_u32 s59, s59, s63
	s_mul_u64 s[60:61], s[60:61], s[58:59]
	s_delay_alu instid0(SALU_CYCLE_1)
	s_mul_hi_u32 s63, s58, s61
	s_mul_i32 s62, s58, s61
	s_mul_hi_u32 s28, s58, s60
	s_mul_i32 s3, s59, s60
	s_add_nc_u64 s[62:63], s[28:29], s[62:63]
	s_mul_hi_u32 s0, s59, s60
	s_mul_hi_u32 s23, s59, s61
	s_add_co_u32 s3, s62, s3
	s_add_co_ci_u32 s28, s63, s0
	s_mul_i32 s60, s59, s61
	s_add_co_ci_u32 s61, s23, 0
	s_delay_alu instid0(SALU_CYCLE_1) | instskip(NEXT) | instid1(SALU_CYCLE_1)
	s_add_nc_u64 s[60:61], s[28:29], s[60:61]
	s_add_co_u32 s0, s58, s60
	s_cselect_b32 s3, -1, 0
	v_mul_hi_u32 v24, v14, s0
	s_cmp_lg_u32 s3, 0
	s_add_co_ci_u32 s28, s59, s61
	s_and_b64 s[58:59], s[0:1], s[4:5]
	v_mul_u64_e32 v[18:19], s[28:29], v[14:15]
	v_mul_u64_e32 v[12:13], s[58:59], v[20:21]
	;; [unrolled: 1-line block ×3, first 2 shown]
	s_delay_alu instid0(VALU_DEP_3) | instskip(NEXT) | instid1(VALU_DEP_1)
	v_add_nc_u64_e32 v[18:19], v[24:25], v[18:19]
	v_add_co_u32 v3, vcc_lo, v18, v12
	s_delay_alu instid0(VALU_DEP_2) | instskip(NEXT) | instid1(VALU_DEP_4)
	v_add_co_ci_u32_e32 v24, vcc_lo, v19, v13, vcc_lo
	v_add_co_ci_u32_e32 v23, vcc_lo, 0, v23, vcc_lo
	s_delay_alu instid0(VALU_DEP_1) | instskip(NEXT) | instid1(VALU_DEP_1)
	v_add_nc_u64_e32 v[12:13], v[24:25], v[22:23]
	v_mul_u64_e32 v[18:19], s[26:27], v[12:13]
	s_delay_alu instid0(VALU_DEP_1) | instskip(NEXT) | instid1(VALU_DEP_2)
	v_sub_nc_u32_e32 v3, v20, v19
	v_sub_co_u32 v11, vcc_lo, v14, v18
	s_delay_alu instid0(VALU_DEP_1) | instskip(NEXT) | instid1(VALU_DEP_3)
	v_sub_co_ci_u32_e64 v17, null, v20, v19, vcc_lo
	v_subrev_co_ci_u32_e64 v3, null, s27, v3, vcc_lo
	s_delay_alu instid0(VALU_DEP_3) | instskip(SKIP_1) | instid1(VALU_DEP_3)
	v_sub_co_u32 v14, s0, v11, s26
	v_add_nc_u64_e32 v[18:19], 1, v[12:13]
	v_subrev_co_ci_u32_e64 v3, null, 0, v3, s0
	s_delay_alu instid0(VALU_DEP_3) | instskip(SKIP_1) | instid1(VALU_DEP_3)
	v_cmp_le_u32_e32 vcc_lo, s26, v14
	v_cndmask_b32_e64 v14, 0, -1, vcc_lo
	v_cmp_le_u32_e32 vcc_lo, s27, v3
	v_cndmask_b32_e64 v15, 0, -1, vcc_lo
	;; [unrolled: 2-line block ×4, first 2 shown]
	v_cmp_eq_u32_e32 vcc_lo, s27, v3
	v_cndmask_b32_e32 v3, v15, v14, vcc_lo
	v_cmp_eq_u32_e32 vcc_lo, s27, v17
	v_add_nc_u64_e32 v[14:15], 2, v[12:13]
	v_cndmask_b32_e32 v11, v20, v11, vcc_lo
	s_delay_alu instid0(VALU_DEP_4) | instskip(NEXT) | instid1(VALU_DEP_2)
	v_cmp_ne_u32_e32 vcc_lo, 0, v3
	v_cmp_ne_u32_e64 s0, 0, v11
	s_delay_alu instid0(VALU_DEP_4) | instskip(NEXT) | instid1(VALU_DEP_1)
	v_dual_cndmask_b32 v3, v19, v15, vcc_lo :: v_dual_cndmask_b32 v11, v18, v14, vcc_lo
	v_dual_cndmask_b32 v3, v13, v3, s0 :: v_dual_bitop2_b32 v10, s2, v10 bitop3:0x14
	s_delay_alu instid0(VALU_DEP_1) | instskip(NEXT) | instid1(VALU_DEP_2)
	v_dual_cndmask_b32 v12, v12, v11, s0 :: v_dual_mov_b32 v11, v10
	v_xor_b32_e32 v13, v3, v10
	s_delay_alu instid0(VALU_DEP_2) | instskip(NEXT) | instid1(VALU_DEP_1)
	v_xor_b32_e32 v12, v12, v10
	v_sub_nc_u64_e32 v[10:11], v[12:13], v[10:11]
.LBB0_9:                                ;   in Loop: Header=BB0_3 Depth=1
	s_and_not1_saveexec_b32 s0, s1
	s_cbranch_execz .LBB0_11
; %bb.10:                               ;   in Loop: Header=BB0_3 Depth=1
	v_cvt_f32_u32_e32 v3, s34
	s_sub_co_i32 s1, 0, s34
	s_delay_alu instid0(VALU_DEP_1) | instskip(SKIP_1) | instid1(TRANS32_DEP_1)
	v_rcp_iflag_f32_e32 v3, v3
	v_nop
	v_mul_f32_e32 v3, 0x4f7ffffe, v3
	s_delay_alu instid0(VALU_DEP_1) | instskip(NEXT) | instid1(VALU_DEP_1)
	v_cvt_u32_f32_e32 v3, v3
	v_mul_lo_u32 v10, s1, v3
	s_delay_alu instid0(VALU_DEP_1) | instskip(NEXT) | instid1(VALU_DEP_1)
	v_mul_hi_u32 v10, v3, v10
	v_add_nc_u32_e32 v3, v3, v10
	s_delay_alu instid0(VALU_DEP_1) | instskip(NEXT) | instid1(VALU_DEP_1)
	v_mul_hi_u32 v3, v8, v3
	v_mul_lo_u32 v10, v3, s34
	s_delay_alu instid0(VALU_DEP_1) | instskip(NEXT) | instid1(VALU_DEP_1)
	v_dual_add_nc_u32 v11, 1, v3 :: v_dual_sub_nc_u32 v10, v8, v10
	v_subrev_nc_u32_e32 v12, s34, v10
	v_cmp_le_u32_e32 vcc_lo, s34, v10
	s_delay_alu instid0(VALU_DEP_2) | instskip(NEXT) | instid1(VALU_DEP_1)
	v_dual_cndmask_b32 v10, v10, v12 :: v_dual_cndmask_b32 v3, v3, v11
	v_cmp_le_u32_e32 vcc_lo, s34, v10
	s_delay_alu instid0(VALU_DEP_2) | instskip(NEXT) | instid1(VALU_DEP_1)
	v_add_nc_u32_e32 v11, 1, v3
	v_dual_cndmask_b32 v10, v3, v11 :: v_dual_mov_b32 v11, v2
.LBB0_11:                               ;   in Loop: Header=BB0_3 Depth=1
	s_or_b32 exec_lo, exec_lo, s0
	s_delay_alu instid0(VALU_DEP_1) | instskip(SKIP_1) | instid1(VALU_DEP_1)
	v_or_b32_e32 v3, s37, v11
                                        ; implicit-def: $vgpr12_vgpr13
	s_mov_b32 s0, exec_lo
	v_cmpx_ne_u64_e32 0, v[2:3]
	s_xor_b32 s1, exec_lo, s0
	s_cbranch_execz .LBB0_13
; %bb.12:                               ;   in Loop: Header=BB0_3 Depth=1
	s_ashr_i32 s2, s37, 31
	v_dual_mov_b32 v19, v2 :: v_dual_ashrrev_i32 v12, 31, v11
	s_mov_b32 s3, s2
	v_mov_b32_e32 v27, v2
	s_add_nc_u64 s[26:27], s[36:37], s[2:3]
	s_delay_alu instid0(VALU_DEP_2) | instskip(SKIP_1) | instid1(SALU_CYCLE_1)
	v_mov_b32_e32 v13, v12
	s_xor_b64 s[26:27], s[26:27], s[2:3]
	s_cvt_f32_u32 s0, s26
	s_cvt_f32_u32 s3, s27
	s_sub_nc_u64 s[60:61], 0, s[26:27]
	v_add_nc_u64_e32 v[14:15], v[10:11], v[12:13]
	v_mov_b32_e32 v23, v2
	s_fmamk_f32 s0, s3, 0x4f800000, s0
	s_delay_alu instid0(SALU_CYCLE_3) | instskip(NEXT) | instid1(VALU_DEP_2)
	v_s_rcp_f32 s0, s0
	v_xor_b32_e32 v18, v14, v12
	s_delay_alu instid0(VALU_DEP_3) | instskip(SKIP_1) | instid1(TRANS32_DEP_1)
	v_xor_b32_e32 v22, v15, v12
	v_xor_b32_e32 v12, s2, v12
	s_mul_f32 s0, s0, 0x5f7ffffc
	s_delay_alu instid0(SALU_CYCLE_3) | instskip(NEXT) | instid1(SALU_CYCLE_3)
	s_mul_f32 s3, s0, 0x2f800000
	s_trunc_f32 s3, s3
	s_delay_alu instid0(SALU_CYCLE_3) | instskip(SKIP_1) | instid1(SALU_CYCLE_2)
	s_fmamk_f32 s0, s3, 0xcf800000, s0
	s_cvt_u32_f32 s59, s3
	s_cvt_u32_f32 s58, s0
	s_delay_alu instid0(SALU_CYCLE_3) | instskip(NEXT) | instid1(SALU_CYCLE_1)
	s_mul_u64 s[62:63], s[60:61], s[58:59]
	s_mul_hi_u32 s65, s58, s63
	s_mul_i32 s64, s58, s63
	s_mul_hi_u32 s28, s58, s62
	s_mul_i32 s3, s59, s62
	s_add_nc_u64 s[64:65], s[28:29], s[64:65]
	s_mul_hi_u32 s0, s59, s62
	s_mul_hi_u32 s23, s59, s63
	s_add_co_u32 s3, s64, s3
	s_add_co_ci_u32 s28, s65, s0
	s_mul_i32 s62, s59, s63
	s_add_co_ci_u32 s63, s23, 0
	s_delay_alu instid0(SALU_CYCLE_1) | instskip(NEXT) | instid1(SALU_CYCLE_1)
	s_add_nc_u64 s[62:63], s[28:29], s[62:63]
	s_add_co_u32 s58, s58, s62
	s_cselect_b32 s0, -1, 0
	s_delay_alu instid0(SALU_CYCLE_1) | instskip(SKIP_1) | instid1(SALU_CYCLE_1)
	s_cmp_lg_u32 s0, 0
	s_add_co_ci_u32 s59, s59, s63
	s_mul_u64 s[60:61], s[60:61], s[58:59]
	s_delay_alu instid0(SALU_CYCLE_1)
	s_mul_hi_u32 s63, s58, s61
	s_mul_i32 s62, s58, s61
	s_mul_hi_u32 s28, s58, s60
	s_mul_i32 s3, s59, s60
	s_add_nc_u64 s[62:63], s[28:29], s[62:63]
	s_mul_hi_u32 s0, s59, s60
	s_mul_hi_u32 s23, s59, s61
	s_add_co_u32 s3, s62, s3
	s_add_co_ci_u32 s28, s63, s0
	s_mul_i32 s60, s59, s61
	s_add_co_ci_u32 s61, s23, 0
	s_delay_alu instid0(SALU_CYCLE_1) | instskip(NEXT) | instid1(SALU_CYCLE_1)
	s_add_nc_u64 s[60:61], s[28:29], s[60:61]
	s_add_co_u32 s0, s58, s60
	s_cselect_b32 s3, -1, 0
	v_mul_hi_u32 v26, v18, s0
	s_cmp_lg_u32 s3, 0
	s_add_co_ci_u32 s28, s59, s61
	s_and_b64 s[58:59], s[0:1], s[4:5]
	v_mul_u64_e32 v[20:21], s[28:29], v[18:19]
	v_mul_u64_e32 v[14:15], s[58:59], v[22:23]
	v_mul_u64_e32 v[24:25], s[28:29], v[22:23]
	s_delay_alu instid0(VALU_DEP_3) | instskip(NEXT) | instid1(VALU_DEP_1)
	v_add_nc_u64_e32 v[20:21], v[26:27], v[20:21]
	v_add_co_u32 v3, vcc_lo, v20, v14
	s_delay_alu instid0(VALU_DEP_2) | instskip(NEXT) | instid1(VALU_DEP_4)
	v_add_co_ci_u32_e32 v26, vcc_lo, v21, v15, vcc_lo
	v_add_co_ci_u32_e32 v25, vcc_lo, 0, v25, vcc_lo
	s_delay_alu instid0(VALU_DEP_1) | instskip(NEXT) | instid1(VALU_DEP_1)
	v_add_nc_u64_e32 v[14:15], v[26:27], v[24:25]
	v_mul_u64_e32 v[20:21], s[26:27], v[14:15]
	s_delay_alu instid0(VALU_DEP_1) | instskip(NEXT) | instid1(VALU_DEP_2)
	v_sub_nc_u32_e32 v3, v22, v21
	v_sub_co_u32 v13, vcc_lo, v18, v20
	s_delay_alu instid0(VALU_DEP_1) | instskip(NEXT) | instid1(VALU_DEP_3)
	v_sub_co_ci_u32_e64 v22, null, v22, v21, vcc_lo
	v_subrev_co_ci_u32_e64 v3, null, s27, v3, vcc_lo
	s_delay_alu instid0(VALU_DEP_3) | instskip(SKIP_1) | instid1(VALU_DEP_3)
	v_sub_co_u32 v17, s0, v13, s26
	v_add_nc_u64_e32 v[20:21], 1, v[14:15]
	v_subrev_co_ci_u32_e64 v3, null, 0, v3, s0
	s_delay_alu instid0(VALU_DEP_3) | instskip(SKIP_1) | instid1(VALU_DEP_3)
	v_cmp_le_u32_e32 vcc_lo, s26, v17
	v_cndmask_b32_e64 v17, 0, -1, vcc_lo
	v_cmp_le_u32_e32 vcc_lo, s27, v3
	v_cndmask_b32_e64 v18, 0, -1, vcc_lo
	v_cmp_le_u32_e32 vcc_lo, s26, v13
	v_cndmask_b32_e64 v13, 0, -1, vcc_lo
	v_cmp_le_u32_e32 vcc_lo, s27, v22
	v_cndmask_b32_e64 v23, 0, -1, vcc_lo
	v_cmp_eq_u32_e32 vcc_lo, s27, v3
	v_cndmask_b32_e32 v3, v18, v17, vcc_lo
	v_cmp_eq_u32_e32 vcc_lo, s27, v22
	v_add_nc_u64_e32 v[18:19], 2, v[14:15]
	v_cndmask_b32_e32 v13, v23, v13, vcc_lo
	s_delay_alu instid0(VALU_DEP_4) | instskip(NEXT) | instid1(VALU_DEP_2)
	v_cmp_ne_u32_e32 vcc_lo, 0, v3
	v_cmp_ne_u32_e64 s0, 0, v13
	s_delay_alu instid0(VALU_DEP_4) | instskip(NEXT) | instid1(VALU_DEP_1)
	v_dual_cndmask_b32 v13, v20, v18, vcc_lo :: v_dual_cndmask_b32 v3, v21, v19, vcc_lo
	v_dual_cndmask_b32 v14, v14, v13, s0 :: v_dual_cndmask_b32 v3, v15, v3, s0
	s_delay_alu instid0(VALU_DEP_1) | instskip(NEXT) | instid1(VALU_DEP_2)
	v_dual_mov_b32 v13, v12 :: v_dual_bitop2_b32 v14, v14, v12 bitop3:0x14
	v_xor_b32_e32 v15, v3, v12
	s_delay_alu instid0(VALU_DEP_1)
	v_sub_nc_u64_e32 v[12:13], v[14:15], v[12:13]
.LBB0_13:                               ;   in Loop: Header=BB0_3 Depth=1
	s_and_not1_saveexec_b32 s0, s1
	s_cbranch_execz .LBB0_15
; %bb.14:                               ;   in Loop: Header=BB0_3 Depth=1
	v_cvt_f32_u32_e32 v3, s36
	s_sub_co_i32 s1, 0, s36
	s_delay_alu instid0(VALU_DEP_1) | instskip(SKIP_1) | instid1(TRANS32_DEP_1)
	v_rcp_iflag_f32_e32 v3, v3
	v_nop
	v_mul_f32_e32 v3, 0x4f7ffffe, v3
	s_delay_alu instid0(VALU_DEP_1) | instskip(NEXT) | instid1(VALU_DEP_1)
	v_cvt_u32_f32_e32 v3, v3
	v_mul_lo_u32 v12, s1, v3
	s_delay_alu instid0(VALU_DEP_1) | instskip(NEXT) | instid1(VALU_DEP_1)
	v_mul_hi_u32 v12, v3, v12
	v_add_nc_u32_e32 v3, v3, v12
	s_delay_alu instid0(VALU_DEP_1) | instskip(NEXT) | instid1(VALU_DEP_1)
	v_mul_hi_u32 v3, v10, v3
	v_mul_lo_u32 v12, v3, s36
	s_delay_alu instid0(VALU_DEP_1) | instskip(NEXT) | instid1(VALU_DEP_1)
	v_dual_add_nc_u32 v13, 1, v3 :: v_dual_sub_nc_u32 v12, v10, v12
	v_subrev_nc_u32_e32 v14, s36, v12
	v_cmp_le_u32_e32 vcc_lo, s36, v12
	s_delay_alu instid0(VALU_DEP_2) | instskip(NEXT) | instid1(VALU_DEP_1)
	v_dual_cndmask_b32 v12, v12, v14 :: v_dual_cndmask_b32 v3, v3, v13
	v_cmp_le_u32_e32 vcc_lo, s36, v12
	s_delay_alu instid0(VALU_DEP_2) | instskip(NEXT) | instid1(VALU_DEP_1)
	v_add_nc_u32_e32 v13, 1, v3
	v_dual_cndmask_b32 v12, v3, v13 :: v_dual_mov_b32 v13, v2
.LBB0_15:                               ;   in Loop: Header=BB0_3 Depth=1
	s_or_b32 exec_lo, exec_lo, s0
	s_delay_alu instid0(VALU_DEP_1) | instskip(SKIP_3) | instid1(VALU_DEP_3)
	v_mul_u64_e32 v[14:15], s[36:37], v[12:13]
	v_mul_u64_e32 v[18:19], s[34:35], v[10:11]
	;; [unrolled: 1-line block ×3, first 2 shown]
	s_and_not1_b32 vcc_lo, exec_lo, s19
	v_sub_nc_u64_e32 v[20:21], v[10:11], v[14:15]
	s_delay_alu instid0(VALU_DEP_3) | instskip(NEXT) | instid1(VALU_DEP_2)
	v_sub_nc_u64_e32 v[18:19], v[8:9], v[18:19]
	v_mul_u64_e32 v[10:11], s[38:39], v[20:21]
	s_delay_alu instid0(VALU_DEP_2) | instskip(SKIP_1) | instid1(VALU_DEP_1)
	v_mul_u64_e32 v[22:23], s[42:43], v[18:19]
	v_mad_nc_u64_u32 v[20:21], v14, s14, v[20:21]
	v_mad_u32 v3, v15, s14, v21
	s_delay_alu instid0(VALU_DEP_2) | instskip(NEXT) | instid1(VALU_DEP_2)
	v_mad_nc_u64_u32 v[18:19], v20, s34, v[18:19]
	v_mad_u32 v3, v14, s15, v3
	v_sub_nc_u64_e64 v[10:11], v[10:11], s[40:41]
	v_sub_nc_u64_e64 v[8:9], v[22:23], s[44:45]
	s_delay_alu instid0(VALU_DEP_3) | instskip(NEXT) | instid1(VALU_DEP_3)
	v_mad_u32 v3, v3, s34, v19
	v_mad_nc_u64_u32 v[24:25], v12, s46, v[10:11]
	s_delay_alu instid0(VALU_DEP_2) | instskip(NEXT) | instid1(VALU_DEP_2)
	v_mad_u32 v19, v20, s35, v3
	v_mad_u32 v13, v13, s46, v25
	s_delay_alu instid0(VALU_DEP_2) | instskip(NEXT) | instid1(VALU_DEP_2)
	v_mul_u64_e32 v[18:19], s[30:31], v[18:19]
	v_mad_u32 v14, v12, s47, v13
	v_mad_nc_u64_u32 v[12:13], v24, s48, v[8:9]
	s_delay_alu instid0(VALU_DEP_1) | instskip(SKIP_1) | instid1(VALU_DEP_1)
	v_mad_u32 v13, v14, s48, v13
	v_sub_nc_u64_e32 v[14:15], v[0:1], v[26:27]
	v_mul_u64_e32 v[20:21], s[10:11], v[14:15]
	s_delay_alu instid0(VALU_DEP_3) | instskip(SKIP_1) | instid1(VALU_DEP_1)
	v_mad_u32 v13, v24, s49, v13
	v_lshl_add_u64 v[6:7], v[18:19], 3, v[6:7]
	v_lshl_add_u64 v[6:7], v[14:15], 3, v[6:7]
	s_delay_alu instid0(VALU_DEP_3) | instskip(SKIP_1) | instid1(VALU_DEP_2)
	v_mul_u64_e32 v[22:23], s[50:51], v[12:13]
	v_sub_nc_u64_e64 v[12:13], v[20:21], s[12:13]
	v_lshl_add_u64 v[4:5], v[22:23], 3, v[4:5]
	s_delay_alu instid0(VALU_DEP_1)
	v_lshl_add_u64 v[4:5], v[12:13], 3, v[4:5]
	s_cbranch_vccnz .LBB0_2
; %bb.16:                               ;   in Loop: Header=BB0_3 Depth=1
	s_mov_b32 s23, 0
	s_mov_b32 s28, 0
	s_branch .LBB0_18
.LBB0_17:                               ;   in Loop: Header=BB0_18 Depth=2
	s_add_co_i32 s28, s28, 1
	s_add_co_i32 s23, s23, s55
	s_cmp_eq_u32 s28, s7
	s_cbranch_scc1 .LBB0_2
.LBB0_18:                               ;   Parent Loop BB0_3 Depth=1
                                        ; =>  This Loop Header: Depth=2
                                        ;       Child Loop BB0_21 Depth 3
                                        ;         Child Loop BB0_24 Depth 4
	s_and_not1_b32 vcc_lo, exec_lo, s33
	s_cbranch_vccnz .LBB0_17
; %bb.19:                               ;   in Loop: Header=BB0_18 Depth=2
	s_mul_i32 s0, s28, s16
	s_mov_b32 s57, 0
	s_ashr_i32 s1, s0, 31
	s_mov_b32 s58, s23
	v_add_nc_u64_e32 v[14:15], s[0:1], v[10:11]
	s_delay_alu instid0(VALU_DEP_1)
	v_cmp_lt_i64_e64 s0, -1, v[14:15]
	v_cmp_gt_i64_e64 s1, s[46:47], v[14:15]
	s_branch .LBB0_21
.LBB0_20:                               ;   in Loop: Header=BB0_21 Depth=3
	s_add_co_i32 s57, s57, 1
	s_add_co_i32 s58, s58, s6
	s_cmp_eq_u32 s57, s8
	s_cbranch_scc1 .LBB0_17
.LBB0_21:                               ;   Parent Loop BB0_3 Depth=1
                                        ;     Parent Loop BB0_18 Depth=2
                                        ; =>    This Loop Header: Depth=3
                                        ;         Child Loop BB0_24 Depth 4
	s_and_not1_b32 vcc_lo, exec_lo, s54
	s_cbranch_vccnz .LBB0_20
; %bb.22:                               ;   in Loop: Header=BB0_21 Depth=3
	s_mul_i32 s2, s57, s17
	s_mov_b32 s26, 0
	s_ashr_i32 s3, s2, 31
	s_mov_b32 s60, s9
	v_add_nc_u64_e32 v[14:15], s[2:3], v[8:9]
	s_delay_alu instid0(VALU_DEP_1)
	v_cmp_lt_i64_e64 s2, -1, v[14:15]
	v_cmp_gt_i64_e32 vcc_lo, s[48:49], v[14:15]
	s_and_b32 s59, s0, s2
	s_branch .LBB0_24
.LBB0_23:                               ;   in Loop: Header=BB0_24 Depth=4
	s_wait_xcnt 0x0
	s_or_b32 exec_lo, exec_lo, s2
	s_wait_loadcnt 0x0
	global_store_b64 v[6:7], v[14:15], off
	s_wait_xcnt 0x0
	v_add_nc_u64_e32 v[6:7], s[52:53], v[6:7]
	s_add_co_i32 s60, s60, -1
	s_add_co_i32 s26, s26, s18
	s_cmp_eq_u32 s60, 0
	s_cbranch_scc1 .LBB0_20
.LBB0_24:                               ;   Parent Loop BB0_3 Depth=1
                                        ;     Parent Loop BB0_18 Depth=2
                                        ;       Parent Loop BB0_21 Depth=3
                                        ; =>      This Inner Loop Header: Depth=4
	s_ashr_i32 s27, s26, 31
	s_delay_alu instid0(SALU_CYCLE_1) | instskip(NEXT) | instid1(VALU_DEP_1)
	v_add_nc_u64_e32 v[14:15], s[26:27], v[12:13]
	v_cmp_lt_i64_e64 s2, -1, v[14:15]
	v_cmp_gt_i64_e64 s3, s[50:51], v[14:15]
	v_mov_b64_e32 v[14:15], 0
	s_and_b32 s2, s59, s2
	s_delay_alu instid0(SALU_CYCLE_1) | instskip(NEXT) | instid1(SALU_CYCLE_1)
	s_and_b32 s2, s1, s2
	s_and_b32 s2, s2, vcc_lo
	s_delay_alu instid0(SALU_CYCLE_1) | instskip(NEXT) | instid1(SALU_CYCLE_1)
	s_and_b32 s3, s2, s3
	s_and_saveexec_b32 s2, s3
	s_cbranch_execz .LBB0_23
; %bb.25:                               ;   in Loop: Header=BB0_24 Depth=4
	s_add_co_i32 s62, s58, s26
	s_delay_alu instid0(SALU_CYCLE_1) | instskip(NEXT) | instid1(SALU_CYCLE_1)
	s_ashr_i32 s63, s62, 31
	v_lshl_add_u64 v[14:15], s[62:63], 3, v[4:5]
	global_load_b64 v[14:15], v[14:15], off
	s_branch .LBB0_23
.LBB0_26:
	s_endpgm
	.section	.rodata,"a",@progbits
	.p2align	6, 0x0
	.amdhsa_kernel _ZN2at6native14vol2col_kernelIdEEvlPKT_iiiiiiiiiiiiiiiiiiPS2_
		.amdhsa_group_segment_fixed_size 0
		.amdhsa_private_segment_fixed_size 0
		.amdhsa_kernarg_size 352
		.amdhsa_user_sgpr_count 2
		.amdhsa_user_sgpr_dispatch_ptr 0
		.amdhsa_user_sgpr_queue_ptr 0
		.amdhsa_user_sgpr_kernarg_segment_ptr 1
		.amdhsa_user_sgpr_dispatch_id 0
		.amdhsa_user_sgpr_kernarg_preload_length 0
		.amdhsa_user_sgpr_kernarg_preload_offset 0
		.amdhsa_user_sgpr_private_segment_size 0
		.amdhsa_wavefront_size32 1
		.amdhsa_uses_dynamic_stack 0
		.amdhsa_enable_private_segment 0
		.amdhsa_system_sgpr_workgroup_id_x 1
		.amdhsa_system_sgpr_workgroup_id_y 0
		.amdhsa_system_sgpr_workgroup_id_z 0
		.amdhsa_system_sgpr_workgroup_info 0
		.amdhsa_system_vgpr_workitem_id 0
		.amdhsa_next_free_vgpr 28
		.amdhsa_next_free_sgpr 66
		.amdhsa_named_barrier_count 0
		.amdhsa_reserve_vcc 1
		.amdhsa_float_round_mode_32 0
		.amdhsa_float_round_mode_16_64 0
		.amdhsa_float_denorm_mode_32 3
		.amdhsa_float_denorm_mode_16_64 3
		.amdhsa_fp16_overflow 0
		.amdhsa_memory_ordered 1
		.amdhsa_forward_progress 1
		.amdhsa_inst_pref_size 25
		.amdhsa_round_robin_scheduling 0
		.amdhsa_exception_fp_ieee_invalid_op 0
		.amdhsa_exception_fp_denorm_src 0
		.amdhsa_exception_fp_ieee_div_zero 0
		.amdhsa_exception_fp_ieee_overflow 0
		.amdhsa_exception_fp_ieee_underflow 0
		.amdhsa_exception_fp_ieee_inexact 0
		.amdhsa_exception_int_div_zero 0
	.end_amdhsa_kernel
	.section	.text._ZN2at6native14vol2col_kernelIdEEvlPKT_iiiiiiiiiiiiiiiiiiPS2_,"axG",@progbits,_ZN2at6native14vol2col_kernelIdEEvlPKT_iiiiiiiiiiiiiiiiiiPS2_,comdat
.Lfunc_end0:
	.size	_ZN2at6native14vol2col_kernelIdEEvlPKT_iiiiiiiiiiiiiiiiiiPS2_, .Lfunc_end0-_ZN2at6native14vol2col_kernelIdEEvlPKT_iiiiiiiiiiiiiiiiiiPS2_
                                        ; -- End function
	.set _ZN2at6native14vol2col_kernelIdEEvlPKT_iiiiiiiiiiiiiiiiiiPS2_.num_vgpr, 28
	.set _ZN2at6native14vol2col_kernelIdEEvlPKT_iiiiiiiiiiiiiiiiiiPS2_.num_agpr, 0
	.set _ZN2at6native14vol2col_kernelIdEEvlPKT_iiiiiiiiiiiiiiiiiiPS2_.numbered_sgpr, 66
	.set _ZN2at6native14vol2col_kernelIdEEvlPKT_iiiiiiiiiiiiiiiiiiPS2_.num_named_barrier, 0
	.set _ZN2at6native14vol2col_kernelIdEEvlPKT_iiiiiiiiiiiiiiiiiiPS2_.private_seg_size, 0
	.set _ZN2at6native14vol2col_kernelIdEEvlPKT_iiiiiiiiiiiiiiiiiiPS2_.uses_vcc, 1
	.set _ZN2at6native14vol2col_kernelIdEEvlPKT_iiiiiiiiiiiiiiiiiiPS2_.uses_flat_scratch, 0
	.set _ZN2at6native14vol2col_kernelIdEEvlPKT_iiiiiiiiiiiiiiiiiiPS2_.has_dyn_sized_stack, 0
	.set _ZN2at6native14vol2col_kernelIdEEvlPKT_iiiiiiiiiiiiiiiiiiPS2_.has_recursion, 0
	.set _ZN2at6native14vol2col_kernelIdEEvlPKT_iiiiiiiiiiiiiiiiiiPS2_.has_indirect_call, 0
	.section	.AMDGPU.csdata,"",@progbits
; Kernel info:
; codeLenInByte = 3136
; TotalNumSgprs: 68
; NumVgprs: 28
; ScratchSize: 0
; MemoryBound: 0
; FloatMode: 240
; IeeeMode: 1
; LDSByteSize: 0 bytes/workgroup (compile time only)
; SGPRBlocks: 0
; VGPRBlocks: 1
; NumSGPRsForWavesPerEU: 68
; NumVGPRsForWavesPerEU: 28
; NamedBarCnt: 0
; Occupancy: 16
; WaveLimiterHint : 0
; COMPUTE_PGM_RSRC2:SCRATCH_EN: 0
; COMPUTE_PGM_RSRC2:USER_SGPR: 2
; COMPUTE_PGM_RSRC2:TRAP_HANDLER: 0
; COMPUTE_PGM_RSRC2:TGID_X_EN: 1
; COMPUTE_PGM_RSRC2:TGID_Y_EN: 0
; COMPUTE_PGM_RSRC2:TGID_Z_EN: 0
; COMPUTE_PGM_RSRC2:TIDIG_COMP_CNT: 0
	.section	.text._ZN2at6native13im2col_kernelIdEEvlPKT_llllllllllllPS2_,"axG",@progbits,_ZN2at6native13im2col_kernelIdEEvlPKT_llllllllllllPS2_,comdat
	.protected	_ZN2at6native13im2col_kernelIdEEvlPKT_llllllllllllPS2_ ; -- Begin function _ZN2at6native13im2col_kernelIdEEvlPKT_llllllllllllPS2_
	.globl	_ZN2at6native13im2col_kernelIdEEvlPKT_llllllllllllPS2_
	.p2align	8
	.type	_ZN2at6native13im2col_kernelIdEEvlPKT_llllllllllllPS2_,@function
_ZN2at6native13im2col_kernelIdEEvlPKT_llllllllllllPS2_: ; @_ZN2at6native13im2col_kernelIdEEvlPKT_llllllllllllPS2_
; %bb.0:
	s_load_b32 s2, s[0:1], 0x84
	s_bfe_u32 s4, ttmp6, 0x4000c
	v_mov_b32_e32 v2, 0
	s_add_co_i32 s21, s4, 1
	s_load_b512 s[4:19], s[0:1], 0x0
	s_and_b32 s3, ttmp6, 15
	s_mul_i32 s21, ttmp9, s21
	s_getreg_b32 s20, hwreg(HW_REG_IB_STS2, 6, 4)
	v_mov_b32_e32 v1, v2
	s_add_co_i32 s3, s3, s21
	s_wait_kmcnt 0x0
	s_and_b32 s2, s2, 0xffff
	s_cmp_eq_u32 s20, 0
	s_mov_b32 s20, exec_lo
	s_cselect_b32 s3, ttmp9, s3
	s_delay_alu instid0(SALU_CYCLE_1) | instskip(SKIP_1) | instid1(VALU_DEP_1)
	v_mad_nc_u64_u32 v[0:1], s2, s3, v[0:1]
	s_mov_b32 s3, 0
	v_cmpx_gt_i64_e64 s[4:5], v[0:1]
	s_cbranch_execz .LBB1_19
; %bb.1:
	s_load_b256 s[20:27], s[0:1], 0x60
	s_wait_kmcnt 0x0
	s_add_nc_u64 s[26:27], s[0:1], 0x78
	v_cmp_gt_i64_e64 s33, s[12:13], 0
	s_load_b32 s28, s[26:27], 0x0
	s_load_b256 s[36:43], s[0:1], 0x40
	v_cmp_gt_i64_e64 s58, s[14:15], 0
	s_mov_b32 s29, s3
	s_lshl_b64 s[30:31], s[10:11], 3
	s_mov_b64 s[48:49], 0xffffffff
	s_mov_b32 s59, 0
	v_cvt_f32_u32_e32 v3, s22
	s_wait_xcnt 0x0
	s_mul_u64 s[0:1], s[14:15], s[20:21]
	s_wait_kmcnt 0x0
	s_mul_i32 s28, s28, s2
	s_mul_u64 s[26:27], s[0:1], s[12:13]
	s_lshl_b64 s[0:1], s[18:19], 3
	v_rcp_iflag_f32_e32 v3, v3
	s_sub_nc_u64 s[0:1], 0, s[0:1]
	s_lshl_b64 s[34:35], s[38:39], 3
	s_add_nc_u64 s[6:7], s[6:7], s[0:1]
	s_mul_u64 s[0:1], s[40:41], s[10:11]
	s_lshl_b64 s[46:47], s[42:43], 3
	s_lshl_b64 s[44:45], s[0:1], 3
	v_nop
	v_mul_f32_e32 v3, 0x4f7ffffe, v3
	s_mul_u64 s[0:1], s[22:23], s[20:21]
	s_ashr_i32 s52, s23, 31
	s_lshl_b64 s[50:51], s[0:1], 3
	s_delay_alu instid0(VALU_DEP_1)
	v_cvt_u32_f32_e32 v18, v3
	s_branch .LBB1_3
.LBB1_2:                                ;   in Loop: Header=BB1_3 Depth=1
	v_add_nc_u64_e32 v[0:1], s[28:29], v[0:1]
	s_delay_alu instid0(VALU_DEP_1) | instskip(SKIP_1) | instid1(SALU_CYCLE_1)
	v_cmp_le_i64_e32 vcc_lo, s[4:5], v[0:1]
	s_or_b32 s59, vcc_lo, s59
	s_and_not1_b32 exec_lo, exec_lo, s59
	s_cbranch_execz .LBB1_19
.LBB1_3:                                ; =>This Loop Header: Depth=1
                                        ;     Child Loop BB1_14 Depth 2
                                        ;       Child Loop BB1_17 Depth 3
	v_or_b32_e32 v3, s23, v1
                                        ; implicit-def: $vgpr4_vgpr5
	s_mov_b32 s0, exec_lo
	s_delay_alu instid0(VALU_DEP_1)
	v_cmpx_ne_u64_e32 0, v[2:3]
	s_xor_b32 s1, exec_lo, s0
	s_cbranch_execz .LBB1_5
; %bb.4:                                ;   in Loop: Header=BB1_3 Depth=1
	s_mov_b32 s53, s52
	v_dual_mov_b32 v9, v2 :: v_dual_ashrrev_i32 v4, 31, v1
	s_add_nc_u64 s[54:55], s[22:23], s[52:53]
	s_delay_alu instid0(SALU_CYCLE_1) | instskip(NEXT) | instid1(VALU_DEP_1)
	s_xor_b64 s[54:55], s[54:55], s[52:53]
	v_mov_b32_e32 v5, v4
	s_cvt_f32_u32 s0, s54
	s_cvt_f32_u32 s2, s55
	s_sub_nc_u64 s[60:61], 0, s[54:55]
	s_delay_alu instid0(VALU_DEP_1) | instskip(NEXT) | instid1(SALU_CYCLE_1)
	v_add_nc_u64_e32 v[6:7], v[0:1], v[4:5]
	s_fmamk_f32 s0, s2, 0x4f800000, s0
	v_mov_b32_e32 v13, v2
	s_delay_alu instid0(SALU_CYCLE_2) | instskip(NEXT) | instid1(VALU_DEP_2)
	v_s_rcp_f32 s0, s0
	v_xor_b32_e32 v8, v6, v4
	s_delay_alu instid0(VALU_DEP_3) | instskip(SKIP_1) | instid1(TRANS32_DEP_1)
	v_dual_mov_b32 v17, v2 :: v_dual_bitop2_b32 v12, v7, v4 bitop3:0x14
	v_xor_b32_e32 v4, s52, v4
	s_mul_f32 s0, s0, 0x5f7ffffc
	s_delay_alu instid0(SALU_CYCLE_3) | instskip(NEXT) | instid1(SALU_CYCLE_3)
	s_mul_f32 s2, s0, 0x2f800000
	s_trunc_f32 s2, s2
	s_delay_alu instid0(SALU_CYCLE_3) | instskip(SKIP_1) | instid1(SALU_CYCLE_2)
	s_fmamk_f32 s0, s2, 0xcf800000, s0
	s_cvt_u32_f32 s57, s2
	s_cvt_u32_f32 s56, s0
	s_delay_alu instid0(SALU_CYCLE_3) | instskip(NEXT) | instid1(SALU_CYCLE_1)
	s_mul_u64 s[62:63], s[60:61], s[56:57]
	s_mul_hi_u32 s65, s56, s63
	s_mul_i32 s64, s56, s63
	s_mul_hi_u32 s2, s56, s62
	s_mul_i32 s53, s57, s62
	s_add_nc_u64 s[64:65], s[2:3], s[64:65]
	s_mul_hi_u32 s0, s57, s62
	s_mul_hi_u32 s66, s57, s63
	s_add_co_u32 s2, s64, s53
	s_add_co_ci_u32 s2, s65, s0
	s_mul_i32 s62, s57, s63
	s_add_co_ci_u32 s63, s66, 0
	s_delay_alu instid0(SALU_CYCLE_1) | instskip(NEXT) | instid1(SALU_CYCLE_1)
	s_add_nc_u64 s[62:63], s[2:3], s[62:63]
	s_add_co_u32 s56, s56, s62
	s_cselect_b32 s0, -1, 0
	s_delay_alu instid0(SALU_CYCLE_1) | instskip(SKIP_1) | instid1(SALU_CYCLE_1)
	s_cmp_lg_u32 s0, 0
	s_add_co_ci_u32 s57, s57, s63
	s_mul_u64 s[60:61], s[60:61], s[56:57]
	s_delay_alu instid0(SALU_CYCLE_1)
	s_mul_hi_u32 s63, s56, s61
	s_mul_i32 s62, s56, s61
	s_mul_hi_u32 s2, s56, s60
	s_mul_i32 s53, s57, s60
	s_add_nc_u64 s[62:63], s[2:3], s[62:63]
	s_mul_hi_u32 s0, s57, s60
	s_mul_hi_u32 s64, s57, s61
	s_add_co_u32 s2, s62, s53
	s_add_co_ci_u32 s2, s63, s0
	s_mul_i32 s60, s57, s61
	s_add_co_ci_u32 s61, s64, 0
	s_delay_alu instid0(SALU_CYCLE_1) | instskip(NEXT) | instid1(SALU_CYCLE_1)
	s_add_nc_u64 s[60:61], s[2:3], s[60:61]
	s_add_co_u32 s0, s56, s60
	s_cselect_b32 s2, -1, 0
	v_mul_hi_u32 v16, v8, s0
	s_cmp_lg_u32 s2, 0
	s_add_co_ci_u32 s2, s57, s61
	s_and_b64 s[56:57], s[0:1], s[48:49]
	v_mul_u64_e32 v[10:11], s[2:3], v[8:9]
	v_mul_u64_e32 v[6:7], s[56:57], v[12:13]
	;; [unrolled: 1-line block ×3, first 2 shown]
	s_delay_alu instid0(VALU_DEP_3) | instskip(NEXT) | instid1(VALU_DEP_1)
	v_add_nc_u64_e32 v[10:11], v[16:17], v[10:11]
	v_add_co_u32 v3, vcc_lo, v10, v6
	s_delay_alu instid0(VALU_DEP_2) | instskip(NEXT) | instid1(VALU_DEP_4)
	v_add_co_ci_u32_e32 v16, vcc_lo, v11, v7, vcc_lo
	v_add_co_ci_u32_e32 v15, vcc_lo, 0, v15, vcc_lo
	s_delay_alu instid0(VALU_DEP_1) | instskip(NEXT) | instid1(VALU_DEP_1)
	v_add_nc_u64_e32 v[6:7], v[16:17], v[14:15]
	v_mul_u64_e32 v[10:11], s[54:55], v[6:7]
	s_delay_alu instid0(VALU_DEP_1) | instskip(NEXT) | instid1(VALU_DEP_2)
	v_sub_nc_u32_e32 v3, v12, v11
	v_sub_co_u32 v5, vcc_lo, v8, v10
	s_delay_alu instid0(VALU_DEP_1) | instskip(NEXT) | instid1(VALU_DEP_3)
	v_sub_co_ci_u32_e64 v12, null, v12, v11, vcc_lo
	v_subrev_co_ci_u32_e64 v3, null, s55, v3, vcc_lo
	s_delay_alu instid0(VALU_DEP_3) | instskip(SKIP_1) | instid1(VALU_DEP_3)
	v_sub_co_u32 v8, s0, v5, s54
	v_add_nc_u64_e32 v[10:11], 1, v[6:7]
	v_subrev_co_ci_u32_e64 v3, null, 0, v3, s0
	s_delay_alu instid0(VALU_DEP_3) | instskip(SKIP_1) | instid1(VALU_DEP_3)
	v_cmp_le_u32_e32 vcc_lo, s54, v8
	v_cndmask_b32_e64 v8, 0, -1, vcc_lo
	v_cmp_le_u32_e32 vcc_lo, s55, v3
	v_cndmask_b32_e64 v9, 0, -1, vcc_lo
	;; [unrolled: 2-line block ×4, first 2 shown]
	v_cmp_eq_u32_e32 vcc_lo, s55, v3
	v_cndmask_b32_e32 v3, v9, v8, vcc_lo
	v_cmp_eq_u32_e32 vcc_lo, s55, v12
	v_add_nc_u64_e32 v[8:9], 2, v[6:7]
	v_cndmask_b32_e32 v5, v13, v5, vcc_lo
	s_delay_alu instid0(VALU_DEP_4) | instskip(NEXT) | instid1(VALU_DEP_2)
	v_cmp_ne_u32_e32 vcc_lo, 0, v3
	v_cmp_ne_u32_e64 s0, 0, v5
	s_delay_alu instid0(VALU_DEP_4) | instskip(NEXT) | instid1(VALU_DEP_1)
	v_dual_cndmask_b32 v3, v11, v9, vcc_lo :: v_dual_cndmask_b32 v5, v10, v8, vcc_lo
	v_dual_cndmask_b32 v6, v6, v5, s0 :: v_dual_mov_b32 v5, v4
	s_delay_alu instid0(VALU_DEP_1) | instskip(NEXT) | instid1(VALU_DEP_1)
	v_dual_cndmask_b32 v3, v7, v3, s0 :: v_dual_bitop2_b32 v6, v6, v4 bitop3:0x14
	v_xor_b32_e32 v7, v3, v4
	s_delay_alu instid0(VALU_DEP_1)
	v_sub_nc_u64_e32 v[4:5], v[6:7], v[4:5]
.LBB1_5:                                ;   in Loop: Header=BB1_3 Depth=1
	s_and_not1_saveexec_b32 s0, s1
	s_cbranch_execz .LBB1_7
; %bb.6:                                ;   in Loop: Header=BB1_3 Depth=1
	s_sub_co_i32 s1, 0, s22
	s_delay_alu instid0(SALU_CYCLE_1) | instskip(NEXT) | instid1(VALU_DEP_1)
	v_mul_lo_u32 v3, s1, v18
	v_mul_hi_u32 v3, v18, v3
	s_delay_alu instid0(VALU_DEP_1) | instskip(NEXT) | instid1(VALU_DEP_1)
	v_add_nc_u32_e32 v3, v18, v3
	v_mul_hi_u32 v3, v0, v3
	s_delay_alu instid0(VALU_DEP_1) | instskip(NEXT) | instid1(VALU_DEP_1)
	v_mul_lo_u32 v4, v3, s22
	v_sub_nc_u32_e32 v4, v0, v4
	s_delay_alu instid0(VALU_DEP_1) | instskip(SKIP_1) | instid1(VALU_DEP_2)
	v_subrev_nc_u32_e32 v6, s22, v4
	v_cmp_le_u32_e32 vcc_lo, s22, v4
	v_dual_cndmask_b32 v4, v4, v6 :: v_dual_add_nc_u32 v5, 1, v3
	s_delay_alu instid0(VALU_DEP_1) | instskip(NEXT) | instid1(VALU_DEP_2)
	v_cndmask_b32_e32 v3, v3, v5, vcc_lo
	v_cmp_le_u32_e32 vcc_lo, s22, v4
	s_delay_alu instid0(VALU_DEP_2) | instskip(NEXT) | instid1(VALU_DEP_1)
	v_add_nc_u32_e32 v5, 1, v3
	v_dual_cndmask_b32 v4, v3, v5 :: v_dual_mov_b32 v5, v2
.LBB1_7:                                ;   in Loop: Header=BB1_3 Depth=1
	s_or_b32 exec_lo, exec_lo, s0
	s_delay_alu instid0(VALU_DEP_1) | instskip(SKIP_1) | instid1(VALU_DEP_1)
	v_or_b32_e32 v3, s21, v5
                                        ; implicit-def: $vgpr6_vgpr7
	s_mov_b32 s0, exec_lo
	v_cmpx_ne_u64_e32 0, v[2:3]
	s_xor_b32 s1, exec_lo, s0
	s_cbranch_execnz .LBB1_10
; %bb.8:                                ;   in Loop: Header=BB1_3 Depth=1
	s_and_not1_saveexec_b32 s0, s1
	s_cbranch_execnz .LBB1_11
.LBB1_9:                                ;   in Loop: Header=BB1_3 Depth=1
	s_or_b32 exec_lo, exec_lo, s0
	s_delay_alu instid0(SALU_CYCLE_1)
	s_and_not1_b32 vcc_lo, exec_lo, s33
	s_cbranch_vccz .LBB1_12
	s_branch .LBB1_2
.LBB1_10:                               ;   in Loop: Header=BB1_3 Depth=1
	s_ashr_i32 s54, s21, 31
	v_dual_mov_b32 v11, v2 :: v_dual_ashrrev_i32 v6, 31, v5
	s_mov_b32 s55, s54
	v_mov_b32_e32 v21, v2
	s_add_nc_u64 s[56:57], s[20:21], s[54:55]
	s_delay_alu instid0(VALU_DEP_2) | instskip(SKIP_1) | instid1(SALU_CYCLE_1)
	v_mov_b32_e32 v7, v6
	s_xor_b64 s[56:57], s[56:57], s[54:55]
	s_cvt_f32_u32 s0, s56
	s_cvt_f32_u32 s2, s57
	s_sub_nc_u64 s[62:63], 0, s[56:57]
	v_add_nc_u64_e32 v[8:9], v[4:5], v[6:7]
	v_mov_b32_e32 v15, v2
	s_fmamk_f32 s0, s2, 0x4f800000, s0
	s_delay_alu instid0(SALU_CYCLE_3) | instskip(NEXT) | instid1(VALU_DEP_2)
	v_s_rcp_f32 s0, s0
	v_xor_b32_e32 v10, v8, v6
	s_delay_alu instid0(VALU_DEP_3) | instskip(NEXT) | instid1(TRANS32_DEP_1)
	v_xor_b32_e32 v14, v9, v6
	s_mul_f32 s0, s0, 0x5f7ffffc
	s_delay_alu instid0(SALU_CYCLE_3) | instskip(NEXT) | instid1(SALU_CYCLE_3)
	s_mul_f32 s2, s0, 0x2f800000
	s_trunc_f32 s2, s2
	s_delay_alu instid0(SALU_CYCLE_3) | instskip(SKIP_1) | instid1(SALU_CYCLE_2)
	s_fmamk_f32 s0, s2, 0xcf800000, s0
	s_cvt_u32_f32 s61, s2
	s_cvt_u32_f32 s60, s0
	s_delay_alu instid0(SALU_CYCLE_3) | instskip(NEXT) | instid1(SALU_CYCLE_1)
	s_mul_u64 s[64:65], s[62:63], s[60:61]
	s_mul_hi_u32 s67, s60, s65
	s_mul_i32 s66, s60, s65
	s_mul_hi_u32 s2, s60, s64
	s_mul_i32 s53, s61, s64
	s_add_nc_u64 s[66:67], s[2:3], s[66:67]
	s_mul_hi_u32 s0, s61, s64
	s_mul_hi_u32 s55, s61, s65
	s_add_co_u32 s2, s66, s53
	s_add_co_ci_u32 s2, s67, s0
	s_mul_i32 s64, s61, s65
	s_add_co_ci_u32 s65, s55, 0
	s_delay_alu instid0(SALU_CYCLE_1) | instskip(NEXT) | instid1(SALU_CYCLE_1)
	s_add_nc_u64 s[64:65], s[2:3], s[64:65]
	s_add_co_u32 s60, s60, s64
	s_cselect_b32 s0, -1, 0
	s_delay_alu instid0(SALU_CYCLE_1) | instskip(SKIP_1) | instid1(SALU_CYCLE_1)
	s_cmp_lg_u32 s0, 0
	s_add_co_ci_u32 s61, s61, s65
	s_mul_u64 s[62:63], s[62:63], s[60:61]
	s_delay_alu instid0(SALU_CYCLE_1)
	s_mul_hi_u32 s65, s60, s63
	s_mul_i32 s64, s60, s63
	s_mul_hi_u32 s2, s60, s62
	s_mul_i32 s53, s61, s62
	s_add_nc_u64 s[64:65], s[2:3], s[64:65]
	s_mul_hi_u32 s0, s61, s62
	s_mul_hi_u32 s55, s61, s63
	s_add_co_u32 s2, s64, s53
	s_add_co_ci_u32 s2, s65, s0
	s_mul_i32 s62, s61, s63
	s_add_co_ci_u32 s63, s55, 0
	s_delay_alu instid0(SALU_CYCLE_1) | instskip(NEXT) | instid1(SALU_CYCLE_1)
	s_add_nc_u64 s[62:63], s[2:3], s[62:63]
	s_add_co_u32 s0, s60, s62
	s_cselect_b32 s2, -1, 0
	v_mul_hi_u32 v20, v10, s0
	s_cmp_lg_u32 s2, 0
	s_add_co_ci_u32 s2, s61, s63
	s_and_b64 s[60:61], s[0:1], s[48:49]
	v_mul_u64_e32 v[12:13], s[2:3], v[10:11]
	v_mul_u64_e32 v[8:9], s[60:61], v[14:15]
	;; [unrolled: 1-line block ×3, first 2 shown]
	s_delay_alu instid0(VALU_DEP_3) | instskip(NEXT) | instid1(VALU_DEP_1)
	v_add_nc_u64_e32 v[12:13], v[20:21], v[12:13]
	v_add_co_u32 v3, vcc_lo, v12, v8
	s_delay_alu instid0(VALU_DEP_2) | instskip(NEXT) | instid1(VALU_DEP_4)
	v_add_co_ci_u32_e32 v20, vcc_lo, v13, v9, vcc_lo
	v_add_co_ci_u32_e32 v17, vcc_lo, 0, v17, vcc_lo
	s_delay_alu instid0(VALU_DEP_1) | instskip(NEXT) | instid1(VALU_DEP_1)
	v_add_nc_u64_e32 v[8:9], v[20:21], v[16:17]
	v_mul_u64_e32 v[12:13], s[56:57], v[8:9]
	s_delay_alu instid0(VALU_DEP_1) | instskip(NEXT) | instid1(VALU_DEP_2)
	v_sub_nc_u32_e32 v3, v14, v13
	v_sub_co_u32 v7, vcc_lo, v10, v12
	s_delay_alu instid0(VALU_DEP_1) | instskip(NEXT) | instid1(VALU_DEP_3)
	v_sub_co_ci_u32_e64 v14, null, v14, v13, vcc_lo
	v_subrev_co_ci_u32_e64 v3, null, s57, v3, vcc_lo
	s_delay_alu instid0(VALU_DEP_3) | instskip(SKIP_1) | instid1(VALU_DEP_3)
	v_sub_co_u32 v10, s0, v7, s56
	v_add_nc_u64_e32 v[12:13], 1, v[8:9]
	v_subrev_co_ci_u32_e64 v3, null, 0, v3, s0
	s_delay_alu instid0(VALU_DEP_3) | instskip(SKIP_1) | instid1(VALU_DEP_3)
	v_cmp_le_u32_e32 vcc_lo, s56, v10
	v_cndmask_b32_e64 v10, 0, -1, vcc_lo
	v_cmp_le_u32_e32 vcc_lo, s57, v3
	v_cndmask_b32_e64 v11, 0, -1, vcc_lo
	;; [unrolled: 2-line block ×4, first 2 shown]
	v_cmp_eq_u32_e32 vcc_lo, s57, v3
	v_cndmask_b32_e32 v3, v11, v10, vcc_lo
	v_cmp_eq_u32_e32 vcc_lo, s57, v14
	v_add_nc_u64_e32 v[10:11], 2, v[8:9]
	v_cndmask_b32_e32 v7, v15, v7, vcc_lo
	s_delay_alu instid0(VALU_DEP_4) | instskip(NEXT) | instid1(VALU_DEP_2)
	v_cmp_ne_u32_e32 vcc_lo, 0, v3
	v_cmp_ne_u32_e64 s0, 0, v7
	s_delay_alu instid0(VALU_DEP_4) | instskip(NEXT) | instid1(VALU_DEP_1)
	v_dual_cndmask_b32 v3, v13, v11, vcc_lo :: v_dual_cndmask_b32 v7, v12, v10, vcc_lo
	v_dual_cndmask_b32 v3, v9, v3, s0 :: v_dual_bitop2_b32 v6, s54, v6 bitop3:0x14
	s_delay_alu instid0(VALU_DEP_1) | instskip(NEXT) | instid1(VALU_DEP_2)
	v_dual_cndmask_b32 v8, v8, v7, s0 :: v_dual_mov_b32 v7, v6
	v_xor_b32_e32 v9, v3, v6
	s_delay_alu instid0(VALU_DEP_2) | instskip(NEXT) | instid1(VALU_DEP_1)
	v_xor_b32_e32 v8, v8, v6
	v_sub_nc_u64_e32 v[6:7], v[8:9], v[6:7]
	s_and_not1_saveexec_b32 s0, s1
	s_cbranch_execz .LBB1_9
.LBB1_11:                               ;   in Loop: Header=BB1_3 Depth=1
	v_cvt_f32_u32_e32 v3, s20
	s_sub_co_i32 s1, 0, s20
	s_delay_alu instid0(VALU_DEP_1) | instskip(SKIP_1) | instid1(TRANS32_DEP_1)
	v_rcp_iflag_f32_e32 v3, v3
	v_nop
	v_mul_f32_e32 v3, 0x4f7ffffe, v3
	s_delay_alu instid0(VALU_DEP_1) | instskip(NEXT) | instid1(VALU_DEP_1)
	v_cvt_u32_f32_e32 v3, v3
	v_mul_lo_u32 v6, s1, v3
	s_delay_alu instid0(VALU_DEP_1) | instskip(NEXT) | instid1(VALU_DEP_1)
	v_mul_hi_u32 v6, v3, v6
	v_add_nc_u32_e32 v3, v3, v6
	s_delay_alu instid0(VALU_DEP_1) | instskip(NEXT) | instid1(VALU_DEP_1)
	v_mul_hi_u32 v3, v4, v3
	v_mul_lo_u32 v6, v3, s20
	s_delay_alu instid0(VALU_DEP_1) | instskip(NEXT) | instid1(VALU_DEP_1)
	v_dual_add_nc_u32 v7, 1, v3 :: v_dual_sub_nc_u32 v6, v4, v6
	v_subrev_nc_u32_e32 v8, s20, v6
	v_cmp_le_u32_e32 vcc_lo, s20, v6
	s_delay_alu instid0(VALU_DEP_2) | instskip(NEXT) | instid1(VALU_DEP_1)
	v_dual_cndmask_b32 v6, v6, v8 :: v_dual_cndmask_b32 v3, v3, v7
	v_cmp_le_u32_e32 vcc_lo, s20, v6
	s_delay_alu instid0(VALU_DEP_2) | instskip(NEXT) | instid1(VALU_DEP_1)
	v_add_nc_u32_e32 v7, 1, v3
	v_dual_cndmask_b32 v6, v3, v7 :: v_dual_mov_b32 v7, v2
	s_or_b32 exec_lo, exec_lo, s0
	s_delay_alu instid0(SALU_CYCLE_1)
	s_and_not1_b32 vcc_lo, exec_lo, s33
	s_cbranch_vccnz .LBB1_2
.LBB1_12:                               ;   in Loop: Header=BB1_3 Depth=1
	s_delay_alu instid0(VALU_DEP_1) | instskip(SKIP_2) | instid1(VALU_DEP_2)
	v_mul_u64_e32 v[8:9], s[20:21], v[6:7]
	v_mul_u64_e32 v[10:11], s[22:23], v[4:5]
	s_mov_b64 s[54:55], 0
	v_sub_nc_u64_e32 v[4:5], v[4:5], v[8:9]
	s_delay_alu instid0(VALU_DEP_2) | instskip(NEXT) | instid1(VALU_DEP_2)
	v_sub_nc_u64_e32 v[10:11], v[0:1], v[10:11]
	v_mul_u64_e32 v[8:9], s[36:37], v[4:5]
	v_mad_nc_u64_u32 v[12:13], s26, v6, v[4:5]
	s_delay_alu instid0(VALU_DEP_3) | instskip(SKIP_1) | instid1(VALU_DEP_3)
	v_mul_u64_e32 v[14:15], s[34:35], v[10:11]
	v_mul_u64_e32 v[16:17], s[38:39], v[10:11]
	v_mad_u32 v3, s27, v6, v13
	s_delay_alu instid0(VALU_DEP_1) | instskip(SKIP_1) | instid1(VALU_DEP_2)
	v_mad_u32 v13, s26, v7, v3
	v_sub_nc_u64_e64 v[4:5], v[8:9], s[16:17]
	v_mul_u64_e32 v[12:13], s[22:23], v[12:13]
	s_delay_alu instid0(VALU_DEP_2) | instskip(NEXT) | instid1(VALU_DEP_1)
	v_mad_nc_u64_u32 v[8:9], v6, s8, v[4:5]
	v_mad_u32 v3, v7, s8, v9
	s_delay_alu instid0(VALU_DEP_2) | instskip(NEXT) | instid1(VALU_DEP_2)
	v_mad_nc_u64_u32 v[14:15], s30, v8, v[14:15]
	v_mad_u32 v3, v6, s9, v3
	s_delay_alu instid0(VALU_DEP_2) | instskip(SKIP_1) | instid1(VALU_DEP_1)
	v_mad_u32 v6, s31, v8, v15
	v_lshl_add_u64 v[12:13], v[12:13], 3, s[24:25]
	v_lshl_add_u64 v[10:11], v[10:11], 3, v[12:13]
	s_delay_alu instid0(VALU_DEP_3) | instskip(SKIP_1) | instid1(VALU_DEP_2)
	v_mad_u32 v15, s30, v3, v6
	v_sub_nc_u64_e64 v[6:7], v[16:17], s[18:19]
	v_add_nc_u64_e32 v[8:9], s[6:7], v[14:15]
	s_branch .LBB1_14
.LBB1_13:                               ;   in Loop: Header=BB1_14 Depth=2
	s_delay_alu instid0(VALU_DEP_1) | instskip(SKIP_1) | instid1(SALU_CYCLE_1)
	v_add_nc_u64_e32 v[8:9], s[44:45], v[8:9]
	s_add_nc_u64 s[54:55], s[54:55], 1
	s_cmp_eq_u64 s[54:55], s[12:13]
	s_cbranch_scc1 .LBB1_2
.LBB1_14:                               ;   Parent Loop BB1_3 Depth=1
                                        ; =>  This Loop Header: Depth=2
                                        ;       Child Loop BB1_17 Depth 3
	s_and_not1_b32 vcc_lo, exec_lo, s58
	s_cbranch_vccnz .LBB1_13
; %bb.15:                               ;   in Loop: Header=BB1_14 Depth=2
	v_mad_nc_u64_u32 v[12:13], s54, s40, v[4:5]
	s_mul_i32 s0, s55, s40
	s_mul_i32 s1, s54, s41
	v_mov_b64_e32 v[14:15], v[8:9]
	s_mov_b64 s[56:57], s[14:15]
	s_delay_alu instid0(VALU_DEP_2) | instskip(NEXT) | instid1(VALU_DEP_1)
	v_add3_u32 v13, s1, s0, v13
	v_cmp_lt_i64_e32 vcc_lo, -1, v[12:13]
	v_cmp_gt_i64_e64 s0, s[8:9], v[12:13]
	v_mov_b64_e32 v[12:13], v[6:7]
	s_branch .LBB1_17
.LBB1_16:                               ;   in Loop: Header=BB1_17 Depth=3
	s_wait_xcnt 0x0
	s_or_b32 exec_lo, exec_lo, s1
	s_wait_loadcnt 0x0
	global_store_b64 v[10:11], v[16:17], off
	v_add_nc_u64_e32 v[14:15], s[46:47], v[14:15]
	v_add_nc_u64_e32 v[12:13], s[42:43], v[12:13]
	s_wait_xcnt 0x0
	v_add_nc_u64_e32 v[10:11], s[50:51], v[10:11]
	s_add_nc_u64 s[56:57], s[56:57], -1
	s_delay_alu instid0(SALU_CYCLE_1)
	s_cmp_eq_u64 s[56:57], 0
	s_cbranch_scc1 .LBB1_13
.LBB1_17:                               ;   Parent Loop BB1_3 Depth=1
                                        ;     Parent Loop BB1_14 Depth=2
                                        ; =>    This Inner Loop Header: Depth=3
	s_delay_alu instid0(VALU_DEP_1) | instskip(SKIP_3) | instid1(SALU_CYCLE_1)
	v_cmp_lt_i64_e64 s1, -1, v[12:13]
	v_cmp_gt_i64_e64 s2, s[10:11], v[12:13]
	v_mov_b64_e32 v[16:17], 0
	s_and_b32 s1, vcc_lo, s1
	s_and_b32 s1, s0, s1
	s_delay_alu instid0(SALU_CYCLE_1) | instskip(NEXT) | instid1(SALU_CYCLE_1)
	s_and_b32 s2, s1, s2
	s_and_saveexec_b32 s1, s2
	s_cbranch_execz .LBB1_16
; %bb.18:                               ;   in Loop: Header=BB1_17 Depth=3
	global_load_b64 v[16:17], v[14:15], off
	s_branch .LBB1_16
.LBB1_19:
	s_endpgm
	.section	.rodata,"a",@progbits
	.p2align	6, 0x0
	.amdhsa_kernel _ZN2at6native13im2col_kernelIdEEvlPKT_llllllllllllPS2_
		.amdhsa_group_segment_fixed_size 0
		.amdhsa_private_segment_fixed_size 0
		.amdhsa_kernarg_size 376
		.amdhsa_user_sgpr_count 2
		.amdhsa_user_sgpr_dispatch_ptr 0
		.amdhsa_user_sgpr_queue_ptr 0
		.amdhsa_user_sgpr_kernarg_segment_ptr 1
		.amdhsa_user_sgpr_dispatch_id 0
		.amdhsa_user_sgpr_kernarg_preload_length 0
		.amdhsa_user_sgpr_kernarg_preload_offset 0
		.amdhsa_user_sgpr_private_segment_size 0
		.amdhsa_wavefront_size32 1
		.amdhsa_uses_dynamic_stack 0
		.amdhsa_enable_private_segment 0
		.amdhsa_system_sgpr_workgroup_id_x 1
		.amdhsa_system_sgpr_workgroup_id_y 0
		.amdhsa_system_sgpr_workgroup_id_z 0
		.amdhsa_system_sgpr_workgroup_info 0
		.amdhsa_system_vgpr_workitem_id 0
		.amdhsa_next_free_vgpr 22
		.amdhsa_next_free_sgpr 68
		.amdhsa_named_barrier_count 0
		.amdhsa_reserve_vcc 1
		.amdhsa_float_round_mode_32 0
		.amdhsa_float_round_mode_16_64 0
		.amdhsa_float_denorm_mode_32 3
		.amdhsa_float_denorm_mode_16_64 3
		.amdhsa_fp16_overflow 0
		.amdhsa_memory_ordered 1
		.amdhsa_forward_progress 1
		.amdhsa_inst_pref_size 17
		.amdhsa_round_robin_scheduling 0
		.amdhsa_exception_fp_ieee_invalid_op 0
		.amdhsa_exception_fp_denorm_src 0
		.amdhsa_exception_fp_ieee_div_zero 0
		.amdhsa_exception_fp_ieee_overflow 0
		.amdhsa_exception_fp_ieee_underflow 0
		.amdhsa_exception_fp_ieee_inexact 0
		.amdhsa_exception_int_div_zero 0
	.end_amdhsa_kernel
	.section	.text._ZN2at6native13im2col_kernelIdEEvlPKT_llllllllllllPS2_,"axG",@progbits,_ZN2at6native13im2col_kernelIdEEvlPKT_llllllllllllPS2_,comdat
.Lfunc_end1:
	.size	_ZN2at6native13im2col_kernelIdEEvlPKT_llllllllllllPS2_, .Lfunc_end1-_ZN2at6native13im2col_kernelIdEEvlPKT_llllllllllllPS2_
                                        ; -- End function
	.set _ZN2at6native13im2col_kernelIdEEvlPKT_llllllllllllPS2_.num_vgpr, 22
	.set _ZN2at6native13im2col_kernelIdEEvlPKT_llllllllllllPS2_.num_agpr, 0
	.set _ZN2at6native13im2col_kernelIdEEvlPKT_llllllllllllPS2_.numbered_sgpr, 68
	.set _ZN2at6native13im2col_kernelIdEEvlPKT_llllllllllllPS2_.num_named_barrier, 0
	.set _ZN2at6native13im2col_kernelIdEEvlPKT_llllllllllllPS2_.private_seg_size, 0
	.set _ZN2at6native13im2col_kernelIdEEvlPKT_llllllllllllPS2_.uses_vcc, 1
	.set _ZN2at6native13im2col_kernelIdEEvlPKT_llllllllllllPS2_.uses_flat_scratch, 0
	.set _ZN2at6native13im2col_kernelIdEEvlPKT_llllllllllllPS2_.has_dyn_sized_stack, 0
	.set _ZN2at6native13im2col_kernelIdEEvlPKT_llllllllllllPS2_.has_recursion, 0
	.set _ZN2at6native13im2col_kernelIdEEvlPKT_llllllllllllPS2_.has_indirect_call, 0
	.section	.AMDGPU.csdata,"",@progbits
; Kernel info:
; codeLenInByte = 2156
; TotalNumSgprs: 70
; NumVgprs: 22
; ScratchSize: 0
; MemoryBound: 0
; FloatMode: 240
; IeeeMode: 1
; LDSByteSize: 0 bytes/workgroup (compile time only)
; SGPRBlocks: 0
; VGPRBlocks: 1
; NumSGPRsForWavesPerEU: 70
; NumVGPRsForWavesPerEU: 22
; NamedBarCnt: 0
; Occupancy: 16
; WaveLimiterHint : 0
; COMPUTE_PGM_RSRC2:SCRATCH_EN: 0
; COMPUTE_PGM_RSRC2:USER_SGPR: 2
; COMPUTE_PGM_RSRC2:TRAP_HANDLER: 0
; COMPUTE_PGM_RSRC2:TGID_X_EN: 1
; COMPUTE_PGM_RSRC2:TGID_Y_EN: 0
; COMPUTE_PGM_RSRC2:TGID_Z_EN: 0
; COMPUTE_PGM_RSRC2:TIDIG_COMP_CNT: 0
	.section	.text._ZN2at6native13vol2im_kernelIddEEvlPKT_jjjjjjjjjjjjjjjjjjjPS2_,"axG",@progbits,_ZN2at6native13vol2im_kernelIddEEvlPKT_jjjjjjjjjjjjjjjjjjjPS2_,comdat
	.protected	_ZN2at6native13vol2im_kernelIddEEvlPKT_jjjjjjjjjjjjjjjjjjjPS2_ ; -- Begin function _ZN2at6native13vol2im_kernelIddEEvlPKT_jjjjjjjjjjjjjjjjjjjPS2_
	.globl	_ZN2at6native13vol2im_kernelIddEEvlPKT_jjjjjjjjjjjjjjjjjjjPS2_
	.p2align	8
	.type	_ZN2at6native13vol2im_kernelIddEEvlPKT_jjjjjjjjjjjjjjjjjjjPS2_,@function
_ZN2at6native13vol2im_kernelIddEEvlPKT_jjjjjjjjjjjjjjjjjjjPS2_: ; @_ZN2at6native13vol2im_kernelIddEEvlPKT_jjjjjjjjjjjjjjjjjjjPS2_
; %bb.0:
	s_clause 0x1
	s_load_b32 s2, s[0:1], 0x74
	s_load_b128 s[20:23], s[0:1], 0x0
	s_bfe_u32 s3, ttmp6, 0x4000c
	s_and_b32 s4, ttmp6, 15
	s_add_co_i32 s3, s3, 1
	s_getreg_b32 s5, hwreg(HW_REG_IB_STS2, 6, 4)
	s_mul_i32 s3, ttmp9, s3
	v_mov_b32_e32 v1, 0
	s_add_co_i32 s4, s4, s3
	s_mov_b32 s29, 0
	s_wait_kmcnt 0x0
	s_and_b32 s2, s2, 0xffff
	s_cmp_eq_u32 s5, 0
	s_cselect_b32 s3, ttmp9, s4
	s_delay_alu instid0(SALU_CYCLE_1) | instskip(SKIP_1) | instid1(VALU_DEP_1)
	v_mad_nc_u64_u32 v[2:3], s2, s3, v[0:1]
	s_mov_b32 s3, exec_lo
	v_cmpx_gt_i64_e64 s[20:21], v[2:3]
	s_cbranch_execz .LBB2_27
; %bb.1:
	s_clause 0x2
	s_load_b96 s[24:26], s[0:1], 0x10
	s_load_b256 s[4:11], s[0:1], 0x20
	s_load_b256 s[12:19], s[0:1], 0x40
	s_add_nc_u64 s[40:41], s[0:1], 0x68
	s_load_b64 s[30:31], s[0:1], 0x60
	s_wait_kmcnt 0x0
	s_mov_b32 s19, s29
	s_load_b32 s0, s[40:41], 0x0
	s_mov_b32 s35, s29
	s_mov_b32 s37, s29
	s_mov_b32 s39, s29
	s_mov_b32 s45, s29
	s_mov_b32 s47, s29
	s_mov_b32 s53, s29
	s_mov_b32 s55, s29
	s_mov_b32 s57, s29
	s_cvt_f32_u32 s36, s26
	s_wait_xcnt 0x0
	s_cvt_f32_u32 s40, s25
	s_cvt_f32_u32 s42, s24
	s_mul_i32 s1, s25, s26
	v_rcp_iflag_f32_e32 v0, s36
	v_rcp_iflag_f32_e32 v4, s40
	s_wait_kmcnt 0x0
	s_mul_i32 s36, s0, s2
	s_add_co_i32 s3, s6, -1
	v_rcp_iflag_f32_e32 v5, s42
	s_add_co_i32 s27, s5, -1
	s_mov_b32 s34, s6
	v_readfirstlane_b32 s0, v0
	v_readfirstlane_b32 s2, v4
	s_mul_i32 s6, s1, s24
	s_mul_i32 s1, s15, s3
	s_mul_i32 s3, s14, s27
	s_mul_f32 s0, s0, 0x4f7ffffe
	s_add_co_i32 s27, s1, 1
	s_cvt_f32_u32 s1, s6
	s_add_co_i32 s33, s4, -1
	s_mul_f32 s2, s2, 0x4f7ffffe
	s_cvt_u32_f32 s0, s0
	s_mul_i32 s60, s13, s33
	s_add_co_i32 s33, s3, 1
	v_readfirstlane_b32 s3, v5
	v_rcp_iflag_f32_e32 v0, s1
	s_sub_co_i32 s38, 0, s26
	s_cvt_u32_f32 s2, s2
	s_mul_i32 s38, s38, s0
	s_sub_co_i32 s41, 0, s25
	s_mul_f32 s1, s3, 0x4f7ffffe
	s_mul_hi_u32 s3, s0, s38
	s_mul_i32 s41, s41, s2
	s_add_co_i32 s38, s0, s3
	v_nop
	v_readfirstlane_b32 s0, v0
	s_mul_hi_u32 s40, s2, s41
	s_cvt_u32_f32 s1, s1
	s_add_co_i32 s40, s2, s40
	s_cvt_f32_u32 s2, s12
	s_mul_f32 s0, s0, 0x4f7ffffe
	s_sub_co_i32 s3, 0, s24
	s_sub_co_i32 s43, 0, s6
	v_rcp_iflag_f32_e32 v0, s2
	s_cvt_f32_u32 s2, s11
	s_mul_i32 s3, s3, s1
	s_cvt_u32_f32 s0, s0
	s_mul_hi_u32 s3, s1, s3
	v_rcp_iflag_f32_e32 v4, s2
	s_add_co_i32 s42, s1, s3
	s_mul_i32 s1, s43, s0
	v_nop
	v_readfirstlane_b32 s2, v0
	s_mul_hi_u32 s1, s0, s1
	s_cvt_f32_u32 s46, s13
	s_add_co_i32 s44, s0, s1
	s_cvt_f32_u32 s0, s10
	v_readfirstlane_b32 s3, v4
	s_mul_f32 s2, s2, 0x4f7ffffe
	s_cvt_f32_u32 s50, s15
	v_rcp_iflag_f32_e32 v0, s0
	s_mov_b32 s28, s5
	s_cvt_u32_f32 s1, s2
	s_mul_f32 s2, s3, 0x4f7ffffe
	s_sub_co_i32 s3, 0, s12
	v_rcp_iflag_f32_e32 v4, s50
	s_mul_i32 s3, s3, s1
	s_cvt_u32_f32 s0, s2
	v_readfirstlane_b32 s49, v0
	v_rcp_iflag_f32_e32 v0, s46
	s_sub_co_i32 s2, 0, s11
	s_mul_hi_u32 s3, s1, s3
	s_mul_i32 s2, s2, s0
	s_add_co_i32 s46, s1, s3
	s_mul_hi_u32 s1, s0, s2
	s_cvt_f32_u32 s2, s14
	s_add_co_i32 s48, s0, s1
	s_mul_f32 s0, s49, 0x4f7ffffe
	v_nop
	v_readfirstlane_b32 s1, v0
	v_rcp_iflag_f32_e32 v0, s2
	s_sub_co_i32 s3, 0, s10
	s_cvt_u32_f32 s0, s0
	s_mov_b32 s5, s17
	s_mul_f32 s1, s1, 0x4f7ffffe
	s_add_co_i32 s60, s60, 1
	s_mul_i32 s3, s3, s0
	v_nop
	v_readfirstlane_b32 s51, v0
	s_cvt_u32_f32 s1, s1
	s_mul_hi_u32 s2, s0, s3
	s_sub_co_i32 s3, 0, s13
	s_add_co_i32 s50, s0, s2
	v_readfirstlane_b32 s0, v4
	s_mul_i32 s3, s3, s1
	s_mov_b32 s41, s29
	s_mul_hi_u32 s2, s1, s3
	s_mul_f32 s3, s51, 0x4f7ffffe
	s_mul_f32 s0, s0, 0x4f7ffffe
	s_add_co_i32 s52, s1, s2
	s_sub_co_i32 s2, 0, s14
	s_cvt_u32_f32 s1, s3
	s_cvt_u32_f32 s0, s0
	s_sub_co_i32 s3, 0, s15
	s_mov_b32 s43, s29
	s_mul_i32 s2, s2, s1
	s_mul_i32 s3, s3, s0
	s_mul_hi_u32 s2, s1, s2
	s_mov_b32 s49, s29
	s_add_co_i32 s54, s1, s2
	s_mul_hi_u32 s1, s0, s3
	s_mov_b32 s51, s29
	s_add_co_i32 s56, s0, s1
	s_lshl_b64 s[58:59], s[18:19], 3
	s_branch .LBB2_4
.LBB2_2:                                ;   in Loop: Header=BB2_4 Depth=1
	s_or_b32 exec_lo, exec_lo, s62
.LBB2_3:                                ;   in Loop: Header=BB2_4 Depth=1
	s_delay_alu instid0(SALU_CYCLE_1) | instskip(SKIP_2) | instid1(VALU_DEP_2)
	s_or_b32 exec_lo, exec_lo, s61
	v_dual_mov_b32 v4, v1 :: v_dual_mov_b32 v5, v2
	v_add_nc_u64_e32 v[2:3], s[36:37], v[2:3]
	v_ashrrev_i64 v[4:5], 29, v[4:5]
	s_delay_alu instid0(VALU_DEP_2) | instskip(NEXT) | instid1(VALU_DEP_2)
	v_cmp_le_i64_e32 vcc_lo, s[20:21], v[2:3]
	v_add_nc_u64_e32 v[4:5], s[30:31], v[4:5]
	s_or_b32 s19, vcc_lo, s19
	global_store_b64 v[4:5], v[16:17], off
	s_wait_xcnt 0x0
	s_and_not1_b32 exec_lo, exec_lo, s19
	s_cbranch_execz .LBB2_27
.LBB2_4:                                ; =>This Loop Header: Depth=1
                                        ;     Child Loop BB2_14 Depth 2
                                        ;       Child Loop BB2_18 Depth 3
                                        ;         Child Loop BB2_23 Depth 4
	v_mov_b32_e32 v0, v2
	s_mov_b32 s0, exec_lo
	s_delay_alu instid0(VALU_DEP_1) | instskip(NEXT) | instid1(VALU_DEP_1)
	v_mul_u64_e32 v[4:5], s[38:39], v[0:1]
	v_mul_lo_u32 v0, v5, s26
	s_delay_alu instid0(VALU_DEP_1) | instskip(NEXT) | instid1(VALU_DEP_1)
	v_dual_add_nc_u32 v4, 1, v5 :: v_dual_sub_nc_u32 v0, v2, v0
	v_subrev_nc_u32_e32 v6, s26, v0
	v_cmp_le_u32_e32 vcc_lo, s26, v0
	s_delay_alu instid0(VALU_DEP_2) | instskip(NEXT) | instid1(VALU_DEP_1)
	v_dual_cndmask_b32 v4, v5, v4, vcc_lo :: v_dual_cndmask_b32 v0, v0, v6, vcc_lo
	v_dual_mov_b32 v6, 0 :: v_dual_add_nc_u32 v5, 1, v4
	s_delay_alu instid0(VALU_DEP_2) | instskip(NEXT) | instid1(VALU_DEP_2)
	v_cmp_le_u32_e32 vcc_lo, s26, v0
	v_cndmask_b32_e32 v0, v4, v5, vcc_lo
	s_delay_alu instid0(VALU_DEP_1) | instskip(NEXT) | instid1(VALU_DEP_1)
	v_mul_lo_u32 v20, v0, s26
	v_sub_nc_u32_e32 v4, v2, v20
	s_delay_alu instid0(VALU_DEP_1) | instskip(NEXT) | instid1(VALU_DEP_1)
	v_dual_add_nc_u32 v14, s9, v4 :: v_dual_mov_b32 v4, 0
	v_cmpx_le_u32_e64 s27, v14
	s_cbranch_execz .LBB2_6
; %bb.5:                                ;   in Loop: Header=BB2_4 Depth=1
	v_subrev_nc_u32_e32 v6, s27, v14
	v_mov_b32_e32 v7, v1
	s_delay_alu instid0(VALU_DEP_1) | instskip(NEXT) | instid1(VALU_DEP_1)
	v_mul_u64_e32 v[8:9], s[46:47], v[6:7]
	v_mul_lo_u32 v5, v9, s12
	s_delay_alu instid0(VALU_DEP_1) | instskip(NEXT) | instid1(VALU_DEP_1)
	v_sub_nc_u32_e32 v5, v6, v5
	v_subrev_nc_u32_e32 v7, s12, v5
	v_cmp_le_u32_e32 vcc_lo, s12, v5
	s_delay_alu instid0(VALU_DEP_2) | instskip(NEXT) | instid1(VALU_DEP_1)
	v_dual_cndmask_b32 v5, v5, v7 :: v_dual_add_nc_u32 v6, 1, v9
	v_cndmask_b32_e32 v6, v9, v6, vcc_lo
	s_delay_alu instid0(VALU_DEP_2) | instskip(NEXT) | instid1(VALU_DEP_2)
	v_cmp_le_u32_e32 vcc_lo, s12, v5
	v_add_nc_u32_e32 v7, 1, v6
	s_delay_alu instid0(VALU_DEP_1) | instskip(NEXT) | instid1(VALU_DEP_1)
	v_cndmask_b32_e32 v5, v6, v7, vcc_lo
	v_add_nc_u32_e32 v6, 1, v5
.LBB2_6:                                ;   in Loop: Header=BB2_4 Depth=1
	s_or_b32 exec_lo, exec_lo, s0
	v_mul_u64_e32 v[8:9], s[40:41], v[0:1]
	s_mov_b32 s0, exec_lo
	v_mov_b32_e32 v10, 0
	s_delay_alu instid0(VALU_DEP_2) | instskip(SKIP_1) | instid1(VALU_DEP_2)
	v_mul_lo_u32 v5, v9, s25
	v_add_nc_u32_e32 v7, 1, v9
	v_sub_nc_u32_e32 v5, v0, v5
	s_delay_alu instid0(VALU_DEP_1) | instskip(NEXT) | instid1(VALU_DEP_3)
	v_cmp_le_u32_e32 vcc_lo, s25, v5
	v_cndmask_b32_e32 v7, v9, v7, vcc_lo
	v_subrev_nc_u32_e32 v8, s25, v5
	s_delay_alu instid0(VALU_DEP_1) | instskip(NEXT) | instid1(VALU_DEP_1)
	v_dual_cndmask_b32 v5, v5, v8 :: v_dual_add_nc_u32 v8, 1, v7
	v_cmp_le_u32_e32 vcc_lo, s25, v5
	s_delay_alu instid0(VALU_DEP_2) | instskip(NEXT) | instid1(VALU_DEP_1)
	v_cndmask_b32_e32 v12, v7, v8, vcc_lo
	v_mul_lo_u32 v5, v12, s25
	s_delay_alu instid0(VALU_DEP_1) | instskip(NEXT) | instid1(VALU_DEP_1)
	v_sub_nc_u32_e32 v0, v0, v5
	v_add_nc_u32_e32 v8, s8, v0
	s_delay_alu instid0(VALU_DEP_1)
	v_cmpx_le_u32_e64 s33, v8
	s_cbranch_execz .LBB2_8
; %bb.7:                                ;   in Loop: Header=BB2_4 Depth=1
	v_subrev_nc_u32_e32 v0, s33, v8
	s_delay_alu instid0(VALU_DEP_1) | instskip(NEXT) | instid1(VALU_DEP_1)
	v_mul_u64_e32 v[10:11], s[48:49], v[0:1]
	v_mul_lo_u32 v5, v11, s11
	s_delay_alu instid0(VALU_DEP_1) | instskip(NEXT) | instid1(VALU_DEP_1)
	v_dual_sub_nc_u32 v0, v0, v5 :: v_dual_add_nc_u32 v5, 1, v11
	v_subrev_nc_u32_e32 v7, s11, v0
	v_cmp_le_u32_e32 vcc_lo, s11, v0
	s_delay_alu instid0(VALU_DEP_2) | instskip(NEXT) | instid1(VALU_DEP_1)
	v_dual_cndmask_b32 v5, v11, v5 :: v_dual_cndmask_b32 v0, v0, v7
	v_add_nc_u32_e32 v7, 1, v5
	s_delay_alu instid0(VALU_DEP_2) | instskip(NEXT) | instid1(VALU_DEP_2)
	v_cmp_le_u32_e32 vcc_lo, s11, v0
	v_cndmask_b32_e32 v0, v5, v7, vcc_lo
	s_delay_alu instid0(VALU_DEP_1)
	v_add_nc_u32_e32 v10, 1, v0
.LBB2_8:                                ;   in Loop: Header=BB2_4 Depth=1
	s_or_b32 exec_lo, exec_lo, s0
	v_mov_b32_e32 v13, v1
	s_mov_b32 s0, exec_lo
	s_delay_alu instid0(VALU_DEP_1) | instskip(NEXT) | instid1(VALU_DEP_1)
	v_mul_u64_e32 v[16:17], s[42:43], v[12:13]
	v_mul_lo_u32 v0, v17, s24
	s_delay_alu instid0(VALU_DEP_1) | instskip(NEXT) | instid1(VALU_DEP_1)
	v_sub_nc_u32_e32 v0, v12, v0
	v_subrev_nc_u32_e32 v5, s24, v0
	v_cmp_le_u32_e32 vcc_lo, s24, v0
	s_delay_alu instid0(VALU_DEP_2) | instskip(NEXT) | instid1(VALU_DEP_1)
	v_cndmask_b32_e32 v0, v0, v5, vcc_lo
	v_subrev_nc_u32_e32 v5, s24, v0
	v_cmp_le_u32_e32 vcc_lo, s24, v0
	s_delay_alu instid0(VALU_DEP_2) | instskip(NEXT) | instid1(VALU_DEP_1)
	v_cndmask_b32_e32 v0, v0, v5, vcc_lo
	v_add_nc_u32_e32 v12, s7, v0
	s_delay_alu instid0(VALU_DEP_1)
	v_cmpx_le_u32_e64 s60, v12
	s_cbranch_execz .LBB2_10
; %bb.9:                                ;   in Loop: Header=BB2_4 Depth=1
	v_subrev_nc_u32_e32 v0, s60, v12
	s_delay_alu instid0(VALU_DEP_1) | instskip(NEXT) | instid1(VALU_DEP_1)
	v_mul_u64_e32 v[4:5], s[50:51], v[0:1]
	v_mul_lo_u32 v4, v5, s10
	s_delay_alu instid0(VALU_DEP_1) | instskip(NEXT) | instid1(VALU_DEP_1)
	v_dual_sub_nc_u32 v0, v0, v4 :: v_dual_add_nc_u32 v4, 1, v5
	v_subrev_nc_u32_e32 v7, s10, v0
	v_cmp_le_u32_e32 vcc_lo, s10, v0
	s_delay_alu instid0(VALU_DEP_2) | instskip(NEXT) | instid1(VALU_DEP_1)
	v_dual_cndmask_b32 v4, v5, v4, vcc_lo :: v_dual_cndmask_b32 v0, v0, v7, vcc_lo
	v_add_nc_u32_e32 v5, 1, v4
	s_delay_alu instid0(VALU_DEP_2) | instskip(NEXT) | instid1(VALU_DEP_2)
	v_cmp_le_u32_e32 vcc_lo, s10, v0
	v_cndmask_b32_e32 v0, v4, v5, vcc_lo
	s_delay_alu instid0(VALU_DEP_1)
	v_add_nc_u32_e32 v4, 1, v0
.LBB2_10:                               ;   in Loop: Header=BB2_4 Depth=1
	s_or_b32 exec_lo, exec_lo, s0
	v_mov_b32_e32 v13, v1
	s_mov_b32 s61, exec_lo
	s_delay_alu instid0(VALU_DEP_1) | instskip(NEXT) | instid1(VALU_DEP_1)
	v_mul_u64_e32 v[16:17], s[50:51], v[12:13]
	v_mul_lo_u32 v0, v17, s10
	s_delay_alu instid0(VALU_DEP_1) | instskip(NEXT) | instid1(VALU_DEP_1)
	v_sub_nc_u32_e32 v0, v12, v0
	v_subrev_nc_u32_e32 v7, s10, v0
	v_cmp_le_u32_e32 vcc_lo, s10, v0
	s_delay_alu instid0(VALU_DEP_2) | instskip(NEXT) | instid1(VALU_DEP_1)
	v_dual_cndmask_b32 v0, v0, v7 :: v_dual_add_nc_u32 v5, 1, v17
	v_cndmask_b32_e32 v5, v17, v5, vcc_lo
	v_mov_b64_e32 v[16:17], 0
	s_delay_alu instid0(VALU_DEP_3) | instskip(NEXT) | instid1(VALU_DEP_3)
	v_cmp_le_u32_e32 vcc_lo, s10, v0
	v_add_nc_u32_e32 v7, 1, v5
	s_delay_alu instid0(VALU_DEP_1) | instskip(NEXT) | instid1(VALU_DEP_1)
	v_cndmask_b32_e32 v0, v5, v7, vcc_lo
	v_add_min_u32_e64 v13, v0, 1, s16
	s_delay_alu instid0(VALU_DEP_1)
	v_cmpx_lt_u32_e64 v4, v13
	s_cbranch_execz .LBB2_3
; %bb.11:                               ;   in Loop: Header=BB2_4 Depth=1
	v_dual_mov_b32 v9, v1 :: v_dual_mov_b32 v15, v1
	v_dual_mov_b32 v0, v2 :: v_dual_mov_b32 v11, v1
	s_mov_b32 s62, 0
	s_delay_alu instid0(VALU_DEP_2) | instskip(NEXT) | instid1(VALU_DEP_3)
	v_mul_u64_e32 v[16:17], s[48:49], v[8:9]
	v_mul_u64_e32 v[18:19], s[46:47], v[14:15]
	s_delay_alu instid0(VALU_DEP_3)
	v_mul_u64_e32 v[22:23], s[44:45], v[0:1]
	v_mov_b32_e32 v5, v1
	v_mul_lo_u32 v16, s12, v6
	v_mul_lo_u32 v0, v17, s11
	;; [unrolled: 1-line block ×4, first 2 shown]
	v_dual_add_nc_u32 v18, 1, v17 :: v_dual_add_nc_u32 v22, 1, v23
	s_delay_alu instid0(VALU_DEP_4) | instskip(NEXT) | instid1(VALU_DEP_3)
	v_dual_add_nc_u32 v21, 1, v19 :: v_dual_sub_nc_u32 v0, v8, v0
	v_sub_nc_u32_e32 v9, v2, v9
	s_delay_alu instid0(VALU_DEP_2) | instskip(SKIP_1) | instid1(VALU_DEP_3)
	v_cmp_le_u32_e32 vcc_lo, s11, v0
	v_sub_nc_u32_e32 v7, v14, v7
	v_cmp_le_u32_e64 s1, s6, v9
	v_cndmask_b32_e32 v14, v17, v18, vcc_lo
	v_subrev_nc_u32_e32 v17, s11, v0
	s_delay_alu instid0(VALU_DEP_4) | instskip(NEXT) | instid1(VALU_DEP_2)
	v_cmp_le_u32_e64 s0, s12, v7
	v_cndmask_b32_e32 v0, v0, v17, vcc_lo
	s_delay_alu instid0(VALU_DEP_2) | instskip(SKIP_4) | instid1(VALU_DEP_4)
	v_dual_cndmask_b32 v18, v19, v21, s0 :: v_dual_add_nc_u32 v17, 1, v14
	v_subrev_nc_u32_e32 v19, s12, v7
	v_cndmask_b32_e64 v21, v23, v22, s1
	v_subrev_nc_u32_e32 v22, s6, v9
	v_cmp_le_u32_e32 vcc_lo, s11, v0
	v_dual_cndmask_b32 v7, v7, v19, s0 :: v_dual_add_nc_u32 v19, 1, v18
	s_delay_alu instid0(VALU_DEP_3) | instskip(SKIP_1) | instid1(VALU_DEP_3)
	v_dual_cndmask_b32 v9, v9, v22, s1 :: v_dual_add_nc_u32 v22, 1, v21
	v_cndmask_b32_e32 v0, v14, v17, vcc_lo
	v_cmp_le_u32_e32 vcc_lo, s12, v7
	s_delay_alu instid0(VALU_DEP_4) | instskip(NEXT) | instid1(VALU_DEP_4)
	v_dual_cndmask_b32 v14, v18, v19, vcc_lo :: v_dual_add_nc_u32 v18, s9, v2
	v_cmp_le_u32_e32 vcc_lo, s6, v9
	v_mov_b32_e32 v7, v1
	s_delay_alu instid0(VALU_DEP_3) | instskip(SKIP_3) | instid1(VALU_DEP_4)
	v_add_min_u32_e64 v30, v14, 1, s18
	v_cndmask_b32_e32 v17, v21, v22, vcc_lo
	v_add_min_u32_e64 v9, v0, 1, s17
	v_sub_nc_u32_e32 v0, v18, v16
	v_cmp_lt_u32_e64 s0, v6, v30
	v_lshl_add_u64 v[18:19], v[6:7], 3, s[22:23]
	v_mul_lo_u32 v14, v17, s4
	v_mov_b64_e32 v[16:17], 0
	v_sub_nc_u32_e32 v7, v0, v20
	v_cmp_lt_u32_e32 vcc_lo, v10, v9
	s_branch .LBB2_14
.LBB2_12:                               ;   in Loop: Header=BB2_14 Depth=2
	s_or_b32 exec_lo, exec_lo, s64
.LBB2_13:                               ;   in Loop: Header=BB2_14 Depth=2
	s_delay_alu instid0(SALU_CYCLE_1) | instskip(SKIP_1) | instid1(VALU_DEP_1)
	s_or_b32 exec_lo, exec_lo, s63
	v_add_nc_u64_e32 v[4:5], 1, v[4:5]
	v_cmp_ge_u32_e64 s1, v4, v13
	s_or_b32 s62, s1, s62
	s_delay_alu instid0(SALU_CYCLE_1)
	s_and_not1_b32 exec_lo, exec_lo, s62
	s_cbranch_execz .LBB2_2
.LBB2_14:                               ;   Parent Loop BB2_4 Depth=1
                                        ; =>  This Loop Header: Depth=2
                                        ;       Child Loop BB2_18 Depth 3
                                        ;         Child Loop BB2_23 Depth 4
	s_and_saveexec_b32 s63, vcc_lo
	s_cbranch_execz .LBB2_13
; %bb.15:                               ;   in Loop: Header=BB2_14 Depth=2
	v_mul_lo_u32 v0, v4, s10
	s_mov_b32 s64, 0
	s_delay_alu instid0(VALU_DEP_1) | instskip(NEXT) | instid1(VALU_DEP_1)
	v_sub_nc_u32_e32 v0, v12, v0
	v_mul_u64_e32 v[20:21], s[52:53], v[0:1]
	s_delay_alu instid0(VALU_DEP_1) | instskip(NEXT) | instid1(VALU_DEP_1)
	v_mul_lo_u32 v20, v21, s13
	v_dual_add_nc_u32 v22, 1, v21 :: v_dual_sub_nc_u32 v20, v0, v20
	s_delay_alu instid0(VALU_DEP_1) | instskip(NEXT) | instid1(VALU_DEP_1)
	v_cmp_le_u32_e64 s1, s13, v20
	v_cndmask_b32_e64 v21, v21, v22, s1
	v_subrev_nc_u32_e32 v23, s13, v20
	s_delay_alu instid0(VALU_DEP_1) | instskip(SKIP_1) | instid1(VALU_DEP_2)
	v_dual_add_nc_u32 v22, 1, v21 :: v_dual_cndmask_b32 v20, v20, v23, s1
	v_mov_b32_e32 v23, v1
	v_cmp_le_u32_e64 s1, s13, v20
	s_delay_alu instid0(VALU_DEP_1) | instskip(NEXT) | instid1(VALU_DEP_1)
	v_cndmask_b32_e64 v22, v21, v22, s1
	v_add_nc_u64_e32 v[20:21], v[22:23], v[14:15]
	v_mul_lo_u32 v22, v22, s13
	s_delay_alu instid0(VALU_DEP_2) | instskip(NEXT) | instid1(VALU_DEP_2)
	v_mul_u64_e32 v[20:21], s[28:29], v[20:21]
	v_sub_nc_u32_e32 v0, v0, v22
	v_mov_b64_e32 v[22:23], v[10:11]
	s_delay_alu instid0(VALU_DEP_2)
	v_cmp_eq_u32_e64 s1, 0, v0
	s_branch .LBB2_18
.LBB2_16:                               ;   in Loop: Header=BB2_18 Depth=3
	s_or_b32 exec_lo, exec_lo, s66
.LBB2_17:                               ;   in Loop: Header=BB2_18 Depth=3
	s_delay_alu instid0(SALU_CYCLE_1) | instskip(NEXT) | instid1(VALU_DEP_2)
	s_or_b32 exec_lo, exec_lo, s65
	v_add_nc_u64_e32 v[22:23], 1, v[22:23]
	s_delay_alu instid0(VALU_DEP_1) | instskip(SKIP_1) | instid1(SALU_CYCLE_1)
	v_cmp_ge_u32_e64 s2, v22, v9
	s_or_b32 s64, s2, s64
	s_and_not1_b32 exec_lo, exec_lo, s64
	s_cbranch_execz .LBB2_12
.LBB2_18:                               ;   Parent Loop BB2_4 Depth=1
                                        ;     Parent Loop BB2_14 Depth=2
                                        ; =>    This Loop Header: Depth=3
                                        ;         Child Loop BB2_23 Depth 4
	s_and_saveexec_b32 s65, s0
	s_cbranch_execz .LBB2_17
; %bb.19:                               ;   in Loop: Header=BB2_18 Depth=3
	s_delay_alu instid0(VALU_DEP_2) | instskip(SKIP_2) | instid1(VALU_DEP_2)
	v_mul_lo_u32 v0, v22, s11
	v_mov_b32_e32 v31, v6
	s_mov_b32 s66, 0
	v_sub_nc_u32_e32 v0, v8, v0
	s_delay_alu instid0(VALU_DEP_1) | instskip(NEXT) | instid1(VALU_DEP_1)
	v_mul_u64_e32 v[24:25], s[54:55], v[0:1]
	v_mul_lo_u32 v24, v25, s14
	s_delay_alu instid0(VALU_DEP_1) | instskip(NEXT) | instid1(VALU_DEP_1)
	v_dual_add_nc_u32 v26, 1, v25 :: v_dual_sub_nc_u32 v24, v0, v24
	v_cmp_le_u32_e64 s2, s14, v24
	s_delay_alu instid0(VALU_DEP_1) | instskip(SKIP_1) | instid1(VALU_DEP_1)
	v_cndmask_b32_e64 v25, v25, v26, s2
	v_subrev_nc_u32_e32 v27, s14, v24
	v_dual_add_nc_u32 v26, 1, v25 :: v_dual_cndmask_b32 v24, v24, v27, s2
	v_mov_b32_e32 v27, v1
	s_delay_alu instid0(VALU_DEP_2) | instskip(NEXT) | instid1(VALU_DEP_1)
	v_cmp_le_u32_e64 s2, s14, v24
	v_cndmask_b32_e64 v26, v25, v26, s2
	s_delay_alu instid0(VALU_DEP_1) | instskip(SKIP_1) | instid1(VALU_DEP_2)
	v_add_nc_u64_e32 v[24:25], v[20:21], v[26:27]
	v_mul_lo_u32 v26, v26, s14
	v_mul_u64_e32 v[24:25], s[34:35], v[24:25]
	s_delay_alu instid0(VALU_DEP_2) | instskip(SKIP_1) | instid1(VALU_DEP_2)
	v_sub_nc_u32_e32 v0, v0, v26
	v_mov_b64_e32 v[26:27], v[18:19]
	v_cmp_eq_u32_e64 s2, 0, v0
	v_mov_b32_e32 v0, v7
	s_branch .LBB2_23
.LBB2_20:                               ;   in Loop: Header=BB2_23 Depth=4
	s_wait_xcnt 0x0
	s_or_b32 exec_lo, exec_lo, s69
.LBB2_21:                               ;   in Loop: Header=BB2_23 Depth=4
	s_delay_alu instid0(SALU_CYCLE_1)
	s_or_b32 exec_lo, exec_lo, s68
.LBB2_22:                               ;   in Loop: Header=BB2_23 Depth=4
	s_delay_alu instid0(SALU_CYCLE_1) | instskip(SKIP_3) | instid1(VALU_DEP_3)
	s_or_b32 exec_lo, exec_lo, s67
	v_add_nc_u32_e32 v31, 1, v31
	v_add_nc_u64_e32 v[26:27], 8, v[26:27]
	v_subrev_nc_u32_e32 v0, s12, v0
	v_cmp_ge_u32_e64 s3, v31, v30
	s_or_b32 s66, s3, s66
	s_delay_alu instid0(SALU_CYCLE_1)
	s_and_not1_b32 exec_lo, exec_lo, s66
	s_cbranch_execz .LBB2_16
.LBB2_23:                               ;   Parent Loop BB2_4 Depth=1
                                        ;     Parent Loop BB2_14 Depth=2
                                        ;       Parent Loop BB2_18 Depth=3
                                        ; =>      This Inner Loop Header: Depth=4
	s_and_saveexec_b32 s67, s1
	s_cbranch_execz .LBB2_22
; %bb.24:                               ;   in Loop: Header=BB2_23 Depth=4
	s_and_saveexec_b32 s68, s2
	s_cbranch_execz .LBB2_21
; %bb.25:                               ;   in Loop: Header=BB2_23 Depth=4
	v_mul_u64_e32 v[28:29], s[56:57], v[0:1]
	s_mov_b32 s69, exec_lo
	s_delay_alu instid0(VALU_DEP_1) | instskip(NEXT) | instid1(VALU_DEP_1)
	v_mul_lo_u32 v28, v29, s15
	v_dual_add_nc_u32 v32, 1, v29 :: v_dual_sub_nc_u32 v28, v0, v28
	s_delay_alu instid0(VALU_DEP_1) | instskip(SKIP_1) | instid1(VALU_DEP_1)
	v_subrev_nc_u32_e32 v33, s15, v28
	v_cmp_le_u32_e64 s3, s15, v28
	v_dual_cndmask_b32 v29, v29, v32, s3 :: v_dual_cndmask_b32 v28, v28, v33, s3
	s_delay_alu instid0(VALU_DEP_1) | instskip(NEXT) | instid1(VALU_DEP_2)
	v_add_nc_u32_e32 v32, 1, v29
	v_cmp_le_u32_e64 s3, s15, v28
	s_delay_alu instid0(VALU_DEP_1) | instskip(NEXT) | instid1(VALU_DEP_1)
	v_cndmask_b32_e64 v28, v29, v32, s3
	v_mul_lo_u32 v29, v28, s15
	s_delay_alu instid0(VALU_DEP_1) | instskip(NEXT) | instid1(VALU_DEP_1)
	v_sub_nc_u32_e32 v29, v0, v29
	v_cmpx_eq_u32_e32 0, v29
	s_cbranch_execz .LBB2_20
; %bb.26:                               ;   in Loop: Header=BB2_23 Depth=4
	v_mov_b32_e32 v29, v1
	s_delay_alu instid0(VALU_DEP_1) | instskip(NEXT) | instid1(VALU_DEP_1)
	v_add_nc_u64_e32 v[28:29], v[24:25], v[28:29]
	v_mad_nc_u64_u32 v[32:33], v28, s16, v[4:5]
	s_delay_alu instid0(VALU_DEP_1) | instskip(NEXT) | instid1(VALU_DEP_2)
	v_mad_nc_u64_u32 v[34:35], s5, v32, v[22:23]
	v_mad_u32 v32, v29, s16, v33
	s_delay_alu instid0(VALU_DEP_2) | instskip(NEXT) | instid1(VALU_DEP_2)
	v_mad_nc_u64_u32 v[28:29], s58, v34, v[26:27]
	v_mad_u32 v32, s5, v32, v35
	s_delay_alu instid0(VALU_DEP_2) | instskip(NEXT) | instid1(VALU_DEP_1)
	v_mad_u32 v29, s59, v34, v29
	v_mad_u32 v29, s58, v32, v29
	global_load_b64 v[28:29], v[28:29], off
	s_wait_loadcnt 0x0
	v_add_f64_e32 v[16:17], v[16:17], v[28:29]
	s_branch .LBB2_20
.LBB2_27:
	s_endpgm
	.section	.rodata,"a",@progbits
	.p2align	6, 0x0
	.amdhsa_kernel _ZN2at6native13vol2im_kernelIddEEvlPKT_jjjjjjjjjjjjjjjjjjjPS2_
		.amdhsa_group_segment_fixed_size 0
		.amdhsa_private_segment_fixed_size 0
		.amdhsa_kernarg_size 360
		.amdhsa_user_sgpr_count 2
		.amdhsa_user_sgpr_dispatch_ptr 0
		.amdhsa_user_sgpr_queue_ptr 0
		.amdhsa_user_sgpr_kernarg_segment_ptr 1
		.amdhsa_user_sgpr_dispatch_id 0
		.amdhsa_user_sgpr_kernarg_preload_length 0
		.amdhsa_user_sgpr_kernarg_preload_offset 0
		.amdhsa_user_sgpr_private_segment_size 0
		.amdhsa_wavefront_size32 1
		.amdhsa_uses_dynamic_stack 0
		.amdhsa_enable_private_segment 0
		.amdhsa_system_sgpr_workgroup_id_x 1
		.amdhsa_system_sgpr_workgroup_id_y 0
		.amdhsa_system_sgpr_workgroup_id_z 0
		.amdhsa_system_sgpr_workgroup_info 0
		.amdhsa_system_vgpr_workitem_id 0
		.amdhsa_next_free_vgpr 36
		.amdhsa_next_free_sgpr 70
		.amdhsa_named_barrier_count 0
		.amdhsa_reserve_vcc 1
		.amdhsa_float_round_mode_32 0
		.amdhsa_float_round_mode_16_64 0
		.amdhsa_float_denorm_mode_32 3
		.amdhsa_float_denorm_mode_16_64 3
		.amdhsa_fp16_overflow 0
		.amdhsa_memory_ordered 1
		.amdhsa_forward_progress 1
		.amdhsa_inst_pref_size 20
		.amdhsa_round_robin_scheduling 0
		.amdhsa_exception_fp_ieee_invalid_op 0
		.amdhsa_exception_fp_denorm_src 0
		.amdhsa_exception_fp_ieee_div_zero 0
		.amdhsa_exception_fp_ieee_overflow 0
		.amdhsa_exception_fp_ieee_underflow 0
		.amdhsa_exception_fp_ieee_inexact 0
		.amdhsa_exception_int_div_zero 0
	.end_amdhsa_kernel
	.section	.text._ZN2at6native13vol2im_kernelIddEEvlPKT_jjjjjjjjjjjjjjjjjjjPS2_,"axG",@progbits,_ZN2at6native13vol2im_kernelIddEEvlPKT_jjjjjjjjjjjjjjjjjjjPS2_,comdat
.Lfunc_end2:
	.size	_ZN2at6native13vol2im_kernelIddEEvlPKT_jjjjjjjjjjjjjjjjjjjPS2_, .Lfunc_end2-_ZN2at6native13vol2im_kernelIddEEvlPKT_jjjjjjjjjjjjjjjjjjjPS2_
                                        ; -- End function
	.set _ZN2at6native13vol2im_kernelIddEEvlPKT_jjjjjjjjjjjjjjjjjjjPS2_.num_vgpr, 36
	.set _ZN2at6native13vol2im_kernelIddEEvlPKT_jjjjjjjjjjjjjjjjjjjPS2_.num_agpr, 0
	.set _ZN2at6native13vol2im_kernelIddEEvlPKT_jjjjjjjjjjjjjjjjjjjPS2_.numbered_sgpr, 70
	.set _ZN2at6native13vol2im_kernelIddEEvlPKT_jjjjjjjjjjjjjjjjjjjPS2_.num_named_barrier, 0
	.set _ZN2at6native13vol2im_kernelIddEEvlPKT_jjjjjjjjjjjjjjjjjjjPS2_.private_seg_size, 0
	.set _ZN2at6native13vol2im_kernelIddEEvlPKT_jjjjjjjjjjjjjjjjjjjPS2_.uses_vcc, 1
	.set _ZN2at6native13vol2im_kernelIddEEvlPKT_jjjjjjjjjjjjjjjjjjjPS2_.uses_flat_scratch, 0
	.set _ZN2at6native13vol2im_kernelIddEEvlPKT_jjjjjjjjjjjjjjjjjjjPS2_.has_dyn_sized_stack, 0
	.set _ZN2at6native13vol2im_kernelIddEEvlPKT_jjjjjjjjjjjjjjjjjjjPS2_.has_recursion, 0
	.set _ZN2at6native13vol2im_kernelIddEEvlPKT_jjjjjjjjjjjjjjjjjjjPS2_.has_indirect_call, 0
	.section	.AMDGPU.csdata,"",@progbits
; Kernel info:
; codeLenInByte = 2488
; TotalNumSgprs: 72
; NumVgprs: 36
; ScratchSize: 0
; MemoryBound: 0
; FloatMode: 240
; IeeeMode: 1
; LDSByteSize: 0 bytes/workgroup (compile time only)
; SGPRBlocks: 0
; VGPRBlocks: 2
; NumSGPRsForWavesPerEU: 72
; NumVGPRsForWavesPerEU: 36
; NamedBarCnt: 0
; Occupancy: 16
; WaveLimiterHint : 0
; COMPUTE_PGM_RSRC2:SCRATCH_EN: 0
; COMPUTE_PGM_RSRC2:USER_SGPR: 2
; COMPUTE_PGM_RSRC2:TRAP_HANDLER: 0
; COMPUTE_PGM_RSRC2:TGID_X_EN: 1
; COMPUTE_PGM_RSRC2:TGID_Y_EN: 0
; COMPUTE_PGM_RSRC2:TGID_Z_EN: 0
; COMPUTE_PGM_RSRC2:TIDIG_COMP_CNT: 0
	.section	.text._ZN2at6native13col2im_kernelIddEEvlPKT_llllllllllllPS2_,"axG",@progbits,_ZN2at6native13col2im_kernelIddEEvlPKT_llllllllllllPS2_,comdat
	.protected	_ZN2at6native13col2im_kernelIddEEvlPKT_llllllllllllPS2_ ; -- Begin function _ZN2at6native13col2im_kernelIddEEvlPKT_llllllllllllPS2_
	.globl	_ZN2at6native13col2im_kernelIddEEvlPKT_llllllllllllPS2_
	.p2align	8
	.type	_ZN2at6native13col2im_kernelIddEEvlPKT_llllllllllllPS2_,@function
_ZN2at6native13col2im_kernelIddEEvlPKT_llllllllllllPS2_: ; @_ZN2at6native13col2im_kernelIddEEvlPKT_llllllllllllPS2_
; %bb.0:
	s_load_b32 s2, s[0:1], 0x84
	s_bfe_u32 s4, ttmp6, 0x4000c
	v_mov_b32_e32 v2, 0
	s_add_co_i32 s21, s4, 1
	s_load_b512 s[4:19], s[0:1], 0x0
	s_and_b32 s3, ttmp6, 15
	s_mul_i32 s21, ttmp9, s21
	s_getreg_b32 s20, hwreg(HW_REG_IB_STS2, 6, 4)
	v_mov_b32_e32 v1, v2
	s_add_co_i32 s3, s3, s21
	s_wait_kmcnt 0x0
	s_and_b32 s2, s2, 0xffff
	s_cmp_eq_u32 s20, 0
	s_mov_b32 s20, exec_lo
	s_cselect_b32 s3, ttmp9, s3
	s_delay_alu instid0(SALU_CYCLE_1) | instskip(SKIP_1) | instid1(VALU_DEP_1)
	v_mad_nc_u64_u32 v[0:1], s2, s3, v[0:1]
	s_mov_b32 s3, 0
	v_cmpx_gt_i64_e64 s[4:5], v[0:1]
	s_cbranch_execz .LBB3_55
; %bb.1:
	s_clause 0x1
	s_load_b256 s[20:27], s[0:1], 0x40
	s_load_b256 s[36:43], s[0:1], 0x60
	s_wait_xcnt 0x0
	s_add_nc_u64 s[0:1], s[0:1], 0x78
	v_cvt_f32_u32_e32 v3, s10
	s_load_b32 s30, s[0:1], 0x0
	s_wait_xcnt 0x0
	s_add_nc_u64 s[0:1], s[14:15], -1
	s_add_nc_u64 s[46:47], s[12:13], -1
	s_mul_u64 s[28:29], s[10:11], s[8:9]
	v_rcp_iflag_f32_e32 v3, v3
	s_mov_b32 s31, s3
	s_mov_b64 s[34:35], 0xffffffff
	s_wait_kmcnt 0x0
	s_ashr_i32 s42, s11, 31
	s_mov_b32 s33, 0
	v_nop
	v_mul_f32_e32 v3, 0x4f7ffffe, v3
	s_delay_alu instid0(VALU_DEP_1)
	v_cvt_u32_f32_e32 v34, v3
	s_mul_u64 s[44:45], s[26:27], s[0:1]
	s_mul_u64 s[46:47], s[24:25], s[46:47]
	s_lshl_b64 s[48:49], s[38:39], 3
	s_not_b64 s[50:51], s[46:47]
	s_not_b64 s[52:53], s[44:45]
	s_mul_i32 s30, s30, s2
	s_branch .LBB3_4
.LBB3_2:                                ;   in Loop: Header=BB3_4 Depth=1
	s_or_b32 exec_lo, exec_lo, s58
.LBB3_3:                                ;   in Loop: Header=BB3_4 Depth=1
	s_delay_alu instid0(SALU_CYCLE_1)
	s_or_b32 exec_lo, exec_lo, s43
	v_add_nc_u64_e32 v[0:1], s[30:31], v[0:1]
	v_lshl_add_u64 v[4:5], v[4:5], 3, s[40:41]
	global_store_b64 v[4:5], v[18:19], off
	v_cmp_le_i64_e32 vcc_lo, s[4:5], v[0:1]
	s_or_b32 s33, vcc_lo, s33
	s_wait_xcnt 0x0
	s_and_not1_b32 exec_lo, exec_lo, s33
	s_cbranch_execz .LBB3_55
.LBB3_4:                                ; =>This Loop Header: Depth=1
                                        ;     Child Loop BB3_40 Depth 2
                                        ;       Child Loop BB3_48 Depth 3
	v_dual_mov_b32 v4, v0 :: v_dual_ashrrev_i32 v5, 31, v0
                                        ; implicit-def: $vgpr12_vgpr13
	s_mov_b32 s0, exec_lo
	s_delay_alu instid0(VALU_DEP_1) | instskip(NEXT) | instid1(VALU_DEP_1)
	v_dual_ashrrev_i32 v6, 31, v5 :: v_dual_bitop2_b32 v3, s11, v5 bitop3:0x54
	v_cmpx_ne_u64_e32 0, v[2:3]
	s_xor_b32 s1, exec_lo, s0
	s_cbranch_execz .LBB3_6
; %bb.5:                                ;   in Loop: Header=BB3_4 Depth=1
	s_mov_b32 s43, s42
	v_dual_mov_b32 v7, v6 :: v_dual_mov_b32 v11, v2
	s_add_nc_u64 s[54:55], s[10:11], s[42:43]
	v_mov_b32_e32 v15, v2
	s_xor_b64 s[54:55], s[54:55], s[42:43]
	s_delay_alu instid0(VALU_DEP_2) | instskip(SKIP_4) | instid1(SALU_CYCLE_1)
	v_add_nc_u64_e32 v[8:9], v[4:5], v[6:7]
	s_cvt_f32_u32 s0, s54
	s_cvt_f32_u32 s2, s55
	s_sub_nc_u64 s[58:59], 0, s[54:55]
	v_mov_b32_e32 v19, v2
	s_fmamk_f32 s0, s2, 0x4f800000, s0
	s_delay_alu instid0(VALU_DEP_2) | instskip(SKIP_1) | instid1(SALU_CYCLE_1)
	v_xor_b32_e32 v10, v8, v6
	v_xor_b32_e32 v14, v9, v6
	v_s_rcp_f32 s0, s0
	s_delay_alu instid0(TRANS32_DEP_1) | instskip(NEXT) | instid1(SALU_CYCLE_3)
	s_mul_f32 s0, s0, 0x5f7ffffc
	s_mul_f32 s2, s0, 0x2f800000
	s_delay_alu instid0(SALU_CYCLE_3) | instskip(NEXT) | instid1(SALU_CYCLE_3)
	s_trunc_f32 s2, s2
	s_fmamk_f32 s0, s2, 0xcf800000, s0
	s_cvt_u32_f32 s57, s2
	s_delay_alu instid0(SALU_CYCLE_2) | instskip(NEXT) | instid1(SALU_CYCLE_3)
	s_cvt_u32_f32 s56, s0
	s_mul_u64 s[60:61], s[58:59], s[56:57]
	s_delay_alu instid0(SALU_CYCLE_1)
	s_mul_hi_u32 s63, s56, s61
	s_mul_i32 s62, s56, s61
	s_mul_hi_u32 s2, s56, s60
	s_mul_i32 s43, s57, s60
	s_add_nc_u64 s[62:63], s[2:3], s[62:63]
	s_mul_hi_u32 s0, s57, s60
	s_mul_hi_u32 s64, s57, s61
	s_add_co_u32 s2, s62, s43
	s_add_co_ci_u32 s2, s63, s0
	s_mul_i32 s60, s57, s61
	s_add_co_ci_u32 s61, s64, 0
	s_delay_alu instid0(SALU_CYCLE_1) | instskip(NEXT) | instid1(SALU_CYCLE_1)
	s_add_nc_u64 s[60:61], s[2:3], s[60:61]
	s_add_co_u32 s56, s56, s60
	s_cselect_b32 s0, -1, 0
	s_delay_alu instid0(SALU_CYCLE_1) | instskip(SKIP_1) | instid1(SALU_CYCLE_1)
	s_cmp_lg_u32 s0, 0
	s_add_co_ci_u32 s57, s57, s61
	s_mul_u64 s[58:59], s[58:59], s[56:57]
	s_delay_alu instid0(SALU_CYCLE_1)
	s_mul_hi_u32 s61, s56, s59
	s_mul_i32 s60, s56, s59
	s_mul_hi_u32 s2, s56, s58
	s_mul_i32 s43, s57, s58
	s_add_nc_u64 s[60:61], s[2:3], s[60:61]
	s_mul_hi_u32 s0, s57, s58
	s_mul_hi_u32 s62, s57, s59
	s_add_co_u32 s2, s60, s43
	s_add_co_ci_u32 s2, s61, s0
	s_mul_i32 s58, s57, s59
	s_add_co_ci_u32 s59, s62, 0
	s_delay_alu instid0(SALU_CYCLE_1) | instskip(NEXT) | instid1(SALU_CYCLE_1)
	s_add_nc_u64 s[58:59], s[2:3], s[58:59]
	s_add_co_u32 s0, s56, s58
	s_cselect_b32 s2, -1, 0
	v_nop
	v_mul_hi_u32 v18, v10, s0
	s_cmp_lg_u32 s2, 0
	s_add_co_ci_u32 s2, s57, s59
	s_and_b64 s[56:57], s[0:1], s[34:35]
	v_mul_u64_e32 v[12:13], s[2:3], v[10:11]
	v_mul_u64_e32 v[8:9], s[56:57], v[14:15]
	;; [unrolled: 1-line block ×3, first 2 shown]
	s_delay_alu instid0(VALU_DEP_3) | instskip(NEXT) | instid1(VALU_DEP_1)
	v_add_nc_u64_e32 v[12:13], v[18:19], v[12:13]
	v_add_co_u32 v3, vcc_lo, v12, v8
	s_delay_alu instid0(VALU_DEP_2) | instskip(NEXT) | instid1(VALU_DEP_4)
	v_add_co_ci_u32_e32 v18, vcc_lo, v13, v9, vcc_lo
	v_add_co_ci_u32_e32 v17, vcc_lo, 0, v17, vcc_lo
	s_delay_alu instid0(VALU_DEP_1) | instskip(NEXT) | instid1(VALU_DEP_1)
	v_add_nc_u64_e32 v[8:9], v[18:19], v[16:17]
	v_mul_u64_e32 v[12:13], s[54:55], v[8:9]
	s_delay_alu instid0(VALU_DEP_1) | instskip(NEXT) | instid1(VALU_DEP_2)
	v_sub_nc_u32_e32 v3, v14, v13
	v_sub_co_u32 v7, vcc_lo, v10, v12
	s_delay_alu instid0(VALU_DEP_1) | instskip(NEXT) | instid1(VALU_DEP_3)
	v_sub_co_ci_u32_e64 v14, null, v14, v13, vcc_lo
	v_subrev_co_ci_u32_e64 v3, null, s55, v3, vcc_lo
	s_delay_alu instid0(VALU_DEP_3) | instskip(SKIP_1) | instid1(VALU_DEP_3)
	v_sub_co_u32 v10, s0, v7, s54
	v_add_nc_u64_e32 v[12:13], 1, v[8:9]
	v_subrev_co_ci_u32_e64 v3, null, 0, v3, s0
	s_delay_alu instid0(VALU_DEP_3) | instskip(SKIP_1) | instid1(VALU_DEP_3)
	v_cmp_le_u32_e32 vcc_lo, s54, v10
	v_cndmask_b32_e64 v10, 0, -1, vcc_lo
	v_cmp_le_u32_e32 vcc_lo, s55, v3
	v_cndmask_b32_e64 v11, 0, -1, vcc_lo
	v_cmp_le_u32_e32 vcc_lo, s54, v7
	v_cndmask_b32_e64 v7, 0, -1, vcc_lo
	v_cmp_le_u32_e32 vcc_lo, s55, v14
	v_cndmask_b32_e64 v15, 0, -1, vcc_lo
	v_cmp_eq_u32_e32 vcc_lo, s55, v3
	v_cndmask_b32_e32 v3, v11, v10, vcc_lo
	v_cmp_eq_u32_e32 vcc_lo, s55, v14
	v_add_nc_u64_e32 v[10:11], 2, v[8:9]
	v_cndmask_b32_e32 v7, v15, v7, vcc_lo
	s_delay_alu instid0(VALU_DEP_4) | instskip(NEXT) | instid1(VALU_DEP_2)
	v_cmp_ne_u32_e32 vcc_lo, 0, v3
	v_cmp_ne_u32_e64 s0, 0, v7
	s_delay_alu instid0(VALU_DEP_4) | instskip(NEXT) | instid1(VALU_DEP_1)
	v_dual_cndmask_b32 v3, v13, v11, vcc_lo :: v_dual_cndmask_b32 v7, v12, v10, vcc_lo
	v_dual_cndmask_b32 v3, v9, v3, s0 :: v_dual_bitop2_b32 v10, s42, v6 bitop3:0x14
	s_delay_alu instid0(VALU_DEP_1) | instskip(NEXT) | instid1(VALU_DEP_2)
	v_dual_mov_b32 v11, v10 :: v_dual_cndmask_b32 v7, v8, v7, s0
	v_xor_b32_e32 v9, v3, v10
	s_delay_alu instid0(VALU_DEP_2) | instskip(NEXT) | instid1(VALU_DEP_1)
	v_xor_b32_e32 v8, v7, v10
	v_sub_nc_u64_e32 v[12:13], v[8:9], v[10:11]
.LBB3_6:                                ;   in Loop: Header=BB3_4 Depth=1
	s_and_not1_saveexec_b32 s0, s1
	s_cbranch_execz .LBB3_8
; %bb.7:                                ;   in Loop: Header=BB3_4 Depth=1
	s_sub_co_i32 s1, 0, s10
	v_mov_b32_e32 v13, v2
	v_mul_lo_u32 v3, s1, v34
	s_delay_alu instid0(VALU_DEP_1) | instskip(NEXT) | instid1(VALU_DEP_1)
	v_mul_hi_u32 v3, v34, v3
	v_add_nc_u32_e32 v3, v34, v3
	s_delay_alu instid0(VALU_DEP_1) | instskip(NEXT) | instid1(VALU_DEP_1)
	v_mul_hi_u32 v3, v4, v3
	v_mul_lo_u32 v7, v3, s10
	v_add_nc_u32_e32 v8, 1, v3
	s_delay_alu instid0(VALU_DEP_2) | instskip(NEXT) | instid1(VALU_DEP_1)
	v_sub_nc_u32_e32 v7, v4, v7
	v_cmp_le_u32_e32 vcc_lo, s10, v7
	s_delay_alu instid0(VALU_DEP_3) | instskip(SKIP_1) | instid1(VALU_DEP_1)
	v_cndmask_b32_e32 v3, v3, v8, vcc_lo
	v_subrev_nc_u32_e32 v9, s10, v7
	v_dual_cndmask_b32 v7, v7, v9 :: v_dual_add_nc_u32 v8, 1, v3
	s_delay_alu instid0(VALU_DEP_1) | instskip(NEXT) | instid1(VALU_DEP_2)
	v_cmp_le_u32_e32 vcc_lo, s10, v7
	v_cndmask_b32_e32 v12, v3, v8, vcc_lo
.LBB3_8:                                ;   in Loop: Header=BB3_4 Depth=1
	s_or_b32 exec_lo, exec_lo, s0
	s_delay_alu instid0(VALU_DEP_1) | instskip(SKIP_1) | instid1(VALU_DEP_1)
	v_or_b32_e32 v3, s9, v13
                                        ; implicit-def: $vgpr8_vgpr9
	s_mov_b32 s0, exec_lo
	v_cmpx_ne_u64_e32 0, v[2:3]
	s_xor_b32 s1, exec_lo, s0
	s_cbranch_execz .LBB3_10
; %bb.9:                                ;   in Loop: Header=BB3_4 Depth=1
	s_ashr_i32 s54, s9, 31
	v_dual_mov_b32 v15, v2 :: v_dual_ashrrev_i32 v8, 31, v13
	s_mov_b32 s55, s54
	v_mov_b32_e32 v23, v2
	s_add_nc_u64 s[56:57], s[8:9], s[54:55]
	s_delay_alu instid0(VALU_DEP_2) | instskip(SKIP_1) | instid1(SALU_CYCLE_1)
	v_mov_b32_e32 v9, v8
	s_xor_b64 s[54:55], s[56:57], s[54:55]
	s_cvt_f32_u32 s0, s54
	s_cvt_f32_u32 s2, s55
	s_sub_nc_u64 s[58:59], 0, s[54:55]
	v_add_nc_u64_e32 v[10:11], v[12:13], v[8:9]
	v_mov_b32_e32 v19, v2
	s_fmamk_f32 s0, s2, 0x4f800000, s0
	s_delay_alu instid0(SALU_CYCLE_3) | instskip(NEXT) | instid1(VALU_DEP_2)
	v_s_rcp_f32 s0, s0
	v_xor_b32_e32 v14, v10, v8
	s_delay_alu instid0(VALU_DEP_3) | instskip(NEXT) | instid1(TRANS32_DEP_1)
	v_xor_b32_e32 v18, v11, v8
	s_mul_f32 s0, s0, 0x5f7ffffc
	s_delay_alu instid0(SALU_CYCLE_3) | instskip(NEXT) | instid1(SALU_CYCLE_3)
	s_mul_f32 s2, s0, 0x2f800000
	s_trunc_f32 s2, s2
	s_delay_alu instid0(SALU_CYCLE_3) | instskip(SKIP_1) | instid1(SALU_CYCLE_2)
	s_fmamk_f32 s0, s2, 0xcf800000, s0
	s_cvt_u32_f32 s57, s2
	s_cvt_u32_f32 s56, s0
	s_delay_alu instid0(SALU_CYCLE_3) | instskip(NEXT) | instid1(SALU_CYCLE_1)
	s_mul_u64 s[60:61], s[58:59], s[56:57]
	s_mul_hi_u32 s63, s56, s61
	s_mul_i32 s62, s56, s61
	s_mul_hi_u32 s2, s56, s60
	s_mul_i32 s43, s57, s60
	s_add_nc_u64 s[62:63], s[2:3], s[62:63]
	s_mul_hi_u32 s0, s57, s60
	s_mul_hi_u32 s64, s57, s61
	s_add_co_u32 s2, s62, s43
	s_add_co_ci_u32 s2, s63, s0
	s_mul_i32 s60, s57, s61
	s_add_co_ci_u32 s61, s64, 0
	s_delay_alu instid0(SALU_CYCLE_1) | instskip(NEXT) | instid1(SALU_CYCLE_1)
	s_add_nc_u64 s[60:61], s[2:3], s[60:61]
	s_add_co_u32 s56, s56, s60
	s_cselect_b32 s0, -1, 0
	s_delay_alu instid0(SALU_CYCLE_1) | instskip(SKIP_1) | instid1(SALU_CYCLE_1)
	s_cmp_lg_u32 s0, 0
	s_add_co_ci_u32 s57, s57, s61
	s_mul_u64 s[58:59], s[58:59], s[56:57]
	s_delay_alu instid0(SALU_CYCLE_1)
	s_mul_hi_u32 s61, s56, s59
	s_mul_i32 s60, s56, s59
	s_mul_hi_u32 s2, s56, s58
	s_mul_i32 s43, s57, s58
	s_add_nc_u64 s[60:61], s[2:3], s[60:61]
	s_mul_hi_u32 s0, s57, s58
	s_mul_hi_u32 s62, s57, s59
	s_add_co_u32 s2, s60, s43
	s_add_co_ci_u32 s2, s61, s0
	s_mul_i32 s58, s57, s59
	s_add_co_ci_u32 s59, s62, 0
	s_delay_alu instid0(SALU_CYCLE_1) | instskip(NEXT) | instid1(SALU_CYCLE_1)
	s_add_nc_u64 s[58:59], s[2:3], s[58:59]
	s_add_co_u32 s0, s56, s58
	s_cselect_b32 s2, -1, 0
	v_mul_hi_u32 v22, v14, s0
	s_cmp_lg_u32 s2, 0
	s_add_co_ci_u32 s2, s57, s59
	s_and_b64 s[56:57], s[0:1], s[34:35]
	v_mul_u64_e32 v[16:17], s[2:3], v[14:15]
	v_mul_u64_e32 v[10:11], s[56:57], v[18:19]
	;; [unrolled: 1-line block ×3, first 2 shown]
	s_delay_alu instid0(VALU_DEP_3) | instskip(NEXT) | instid1(VALU_DEP_1)
	v_add_nc_u64_e32 v[16:17], v[22:23], v[16:17]
	v_add_co_u32 v3, vcc_lo, v16, v10
	s_delay_alu instid0(VALU_DEP_2) | instskip(NEXT) | instid1(VALU_DEP_4)
	v_add_co_ci_u32_e32 v22, vcc_lo, v17, v11, vcc_lo
	v_add_co_ci_u32_e32 v21, vcc_lo, 0, v21, vcc_lo
	s_delay_alu instid0(VALU_DEP_1) | instskip(NEXT) | instid1(VALU_DEP_1)
	v_add_nc_u64_e32 v[10:11], v[22:23], v[20:21]
	v_mul_u64_e32 v[10:11], s[54:55], v[10:11]
	s_delay_alu instid0(VALU_DEP_1) | instskip(NEXT) | instid1(VALU_DEP_2)
	v_sub_nc_u32_e32 v3, v18, v11
	v_sub_co_u32 v7, vcc_lo, v14, v10
	s_delay_alu instid0(VALU_DEP_1) | instskip(NEXT) | instid1(VALU_DEP_3)
	v_sub_co_ci_u32_e64 v10, null, v18, v11, vcc_lo
	v_subrev_co_ci_u32_e64 v3, null, s55, v3, vcc_lo
	s_delay_alu instid0(VALU_DEP_3) | instskip(SKIP_1) | instid1(VALU_DEP_3)
	v_sub_co_u32 v11, vcc_lo, v7, s54
	v_cmp_le_u32_e64 s0, s54, v7
	v_subrev_co_ci_u32_e64 v14, null, 0, v3, vcc_lo
	v_subrev_co_ci_u32_e64 v3, null, s55, v3, vcc_lo
	s_delay_alu instid0(VALU_DEP_3) | instskip(SKIP_2) | instid1(VALU_DEP_2)
	v_cndmask_b32_e64 v15, 0, -1, s0
	v_cmp_le_u32_e64 s0, s54, v11
	v_cmp_le_u32_e32 vcc_lo, s55, v10
	v_cndmask_b32_e64 v16, 0, -1, s0
	v_cmp_le_u32_e64 s0, s55, v14
	v_cndmask_b32_e64 v18, 0, -1, vcc_lo
	v_cmp_eq_u32_e32 vcc_lo, s55, v14
	s_delay_alu instid0(VALU_DEP_3) | instskip(SKIP_1) | instid1(VALU_DEP_2)
	v_cndmask_b32_e64 v17, 0, -1, s0
	v_cmp_eq_u32_e64 s0, s55, v10
	v_cndmask_b32_e32 v16, v17, v16, vcc_lo
	v_sub_co_u32 v17, vcc_lo, v11, s54
	s_delay_alu instid0(VALU_DEP_1) | instskip(NEXT) | instid1(VALU_DEP_3)
	v_subrev_co_ci_u32_e64 v3, null, 0, v3, vcc_lo
	v_cmp_ne_u32_e32 vcc_lo, 0, v16
	v_cndmask_b32_e64 v15, v18, v15, s0
	s_delay_alu instid0(VALU_DEP_3) | instskip(NEXT) | instid1(VALU_DEP_2)
	v_dual_cndmask_b32 v3, v14, v3, vcc_lo :: v_dual_cndmask_b32 v11, v11, v17, vcc_lo
	v_cmp_ne_u32_e32 vcc_lo, 0, v15
	s_delay_alu instid0(VALU_DEP_2) | instskip(NEXT) | instid1(VALU_DEP_3)
	v_cndmask_b32_e32 v3, v10, v3, vcc_lo
	v_cndmask_b32_e32 v7, v7, v11, vcc_lo
	s_delay_alu instid0(VALU_DEP_2) | instskip(NEXT) | instid1(VALU_DEP_2)
	v_xor_b32_e32 v11, v3, v8
	v_xor_b32_e32 v10, v7, v8
	s_delay_alu instid0(VALU_DEP_1)
	v_sub_nc_u64_e32 v[8:9], v[10:11], v[8:9]
.LBB3_10:                               ;   in Loop: Header=BB3_4 Depth=1
	s_and_not1_saveexec_b32 s0, s1
	s_cbranch_execz .LBB3_12
; %bb.11:                               ;   in Loop: Header=BB3_4 Depth=1
	v_cvt_f32_u32_e32 v3, s8
	s_sub_co_i32 s1, 0, s8
	v_mov_b32_e32 v9, v2
	s_delay_alu instid0(VALU_DEP_2) | instskip(SKIP_1) | instid1(TRANS32_DEP_1)
	v_rcp_iflag_f32_e32 v3, v3
	v_nop
	v_mul_f32_e32 v3, 0x4f7ffffe, v3
	s_delay_alu instid0(VALU_DEP_1) | instskip(NEXT) | instid1(VALU_DEP_1)
	v_cvt_u32_f32_e32 v3, v3
	v_mul_lo_u32 v7, s1, v3
	s_delay_alu instid0(VALU_DEP_1) | instskip(NEXT) | instid1(VALU_DEP_1)
	v_mul_hi_u32 v7, v3, v7
	v_add_nc_u32_e32 v3, v3, v7
	s_delay_alu instid0(VALU_DEP_1) | instskip(NEXT) | instid1(VALU_DEP_1)
	v_mul_hi_u32 v3, v12, v3
	v_mul_lo_u32 v3, v3, s8
	s_delay_alu instid0(VALU_DEP_1) | instskip(NEXT) | instid1(VALU_DEP_1)
	v_sub_nc_u32_e32 v3, v12, v3
	v_subrev_nc_u32_e32 v7, s8, v3
	v_cmp_le_u32_e32 vcc_lo, s8, v3
	s_delay_alu instid0(VALU_DEP_2) | instskip(NEXT) | instid1(VALU_DEP_1)
	v_cndmask_b32_e32 v3, v3, v7, vcc_lo
	v_subrev_nc_u32_e32 v7, s8, v3
	v_cmp_le_u32_e32 vcc_lo, s8, v3
	s_delay_alu instid0(VALU_DEP_2)
	v_cndmask_b32_e32 v8, v3, v7, vcc_lo
.LBB3_12:                               ;   in Loop: Header=BB3_4 Depth=1
	s_or_b32 exec_lo, exec_lo, s0
	v_or_b32_e32 v3, s29, v5
                                        ; implicit-def: $vgpr10_vgpr11
	s_mov_b32 s0, exec_lo
	s_delay_alu instid0(VALU_DEP_1)
	v_cmpx_ne_u64_e32 0, v[2:3]
	s_xor_b32 s1, exec_lo, s0
	s_cbranch_execz .LBB3_14
; %bb.13:                               ;   in Loop: Header=BB3_4 Depth=1
	s_ashr_i32 s54, s29, 31
	v_dual_mov_b32 v7, v6 :: v_dual_mov_b32 v15, v2
	s_mov_b32 s55, s54
	v_mov_b32_e32 v23, v2
	s_add_nc_u64 s[56:57], s[28:29], s[54:55]
	s_delay_alu instid0(VALU_DEP_2)
	v_add_nc_u64_e32 v[10:11], v[4:5], v[6:7]
	s_xor_b64 s[56:57], s[56:57], s[54:55]
	v_mov_b32_e32 v19, v2
	s_cvt_f32_u32 s0, s56
	s_cvt_f32_u32 s2, s57
	s_sub_nc_u64 s[60:61], 0, s[56:57]
	s_delay_alu instid0(VALU_DEP_2) | instskip(NEXT) | instid1(SALU_CYCLE_1)
	v_xor_b32_e32 v14, v10, v6
	s_fmamk_f32 s0, s2, 0x4f800000, s0
	v_xor_b32_e32 v18, v11, v6
	v_xor_b32_e32 v6, s54, v6
	s_delay_alu instid0(SALU_CYCLE_1) | instskip(NEXT) | instid1(TRANS32_DEP_1)
	v_s_rcp_f32 s0, s0
	s_mul_f32 s0, s0, 0x5f7ffffc
	s_delay_alu instid0(SALU_CYCLE_3) | instskip(NEXT) | instid1(SALU_CYCLE_3)
	s_mul_f32 s2, s0, 0x2f800000
	s_trunc_f32 s2, s2
	s_delay_alu instid0(SALU_CYCLE_3) | instskip(SKIP_1) | instid1(SALU_CYCLE_2)
	s_fmamk_f32 s0, s2, 0xcf800000, s0
	s_cvt_u32_f32 s59, s2
	s_cvt_u32_f32 s58, s0
	s_delay_alu instid0(SALU_CYCLE_3) | instskip(NEXT) | instid1(SALU_CYCLE_1)
	s_mul_u64 s[62:63], s[60:61], s[58:59]
	s_mul_hi_u32 s65, s58, s63
	s_mul_i32 s64, s58, s63
	s_mul_hi_u32 s2, s58, s62
	s_mul_i32 s43, s59, s62
	s_add_nc_u64 s[64:65], s[2:3], s[64:65]
	s_mul_hi_u32 s0, s59, s62
	s_mul_hi_u32 s55, s59, s63
	s_add_co_u32 s2, s64, s43
	s_add_co_ci_u32 s2, s65, s0
	s_mul_i32 s62, s59, s63
	s_add_co_ci_u32 s63, s55, 0
	s_delay_alu instid0(SALU_CYCLE_1) | instskip(NEXT) | instid1(SALU_CYCLE_1)
	s_add_nc_u64 s[62:63], s[2:3], s[62:63]
	s_add_co_u32 s58, s58, s62
	s_cselect_b32 s0, -1, 0
	s_delay_alu instid0(SALU_CYCLE_1) | instskip(SKIP_1) | instid1(SALU_CYCLE_1)
	s_cmp_lg_u32 s0, 0
	s_add_co_ci_u32 s59, s59, s63
	s_mul_u64 s[60:61], s[60:61], s[58:59]
	s_delay_alu instid0(SALU_CYCLE_1)
	s_mul_hi_u32 s63, s58, s61
	s_mul_i32 s62, s58, s61
	s_mul_hi_u32 s2, s58, s60
	s_mul_i32 s43, s59, s60
	s_add_nc_u64 s[62:63], s[2:3], s[62:63]
	s_mul_hi_u32 s0, s59, s60
	s_mul_hi_u32 s55, s59, s61
	s_add_co_u32 s2, s62, s43
	s_add_co_ci_u32 s2, s63, s0
	s_mul_i32 s60, s59, s61
	s_add_co_ci_u32 s61, s55, 0
	s_delay_alu instid0(SALU_CYCLE_1) | instskip(NEXT) | instid1(SALU_CYCLE_1)
	s_add_nc_u64 s[60:61], s[2:3], s[60:61]
	s_add_co_u32 s0, s58, s60
	s_cselect_b32 s2, -1, 0
	v_nop
	v_mul_hi_u32 v22, v14, s0
	s_cmp_lg_u32 s2, 0
	s_add_co_ci_u32 s2, s59, s61
	s_and_b64 s[58:59], s[0:1], s[34:35]
	v_mul_u64_e32 v[16:17], s[2:3], v[14:15]
	v_mul_u64_e32 v[10:11], s[58:59], v[18:19]
	;; [unrolled: 1-line block ×3, first 2 shown]
	s_delay_alu instid0(VALU_DEP_3) | instskip(NEXT) | instid1(VALU_DEP_1)
	v_add_nc_u64_e32 v[16:17], v[22:23], v[16:17]
	v_add_co_u32 v3, vcc_lo, v16, v10
	s_delay_alu instid0(VALU_DEP_2) | instskip(NEXT) | instid1(VALU_DEP_4)
	v_add_co_ci_u32_e32 v22, vcc_lo, v17, v11, vcc_lo
	v_add_co_ci_u32_e32 v21, vcc_lo, 0, v21, vcc_lo
	s_delay_alu instid0(VALU_DEP_1) | instskip(NEXT) | instid1(VALU_DEP_1)
	v_add_nc_u64_e32 v[10:11], v[22:23], v[20:21]
	v_mul_u64_e32 v[16:17], s[56:57], v[10:11]
	s_delay_alu instid0(VALU_DEP_1) | instskip(NEXT) | instid1(VALU_DEP_2)
	v_sub_nc_u32_e32 v3, v18, v17
	v_sub_co_u32 v7, vcc_lo, v14, v16
	s_delay_alu instid0(VALU_DEP_1) | instskip(NEXT) | instid1(VALU_DEP_3)
	v_sub_co_ci_u32_e64 v18, null, v18, v17, vcc_lo
	v_subrev_co_ci_u32_e64 v3, null, s57, v3, vcc_lo
	s_delay_alu instid0(VALU_DEP_3) | instskip(SKIP_1) | instid1(VALU_DEP_3)
	v_sub_co_u32 v14, s0, v7, s56
	v_add_nc_u64_e32 v[16:17], 1, v[10:11]
	v_subrev_co_ci_u32_e64 v3, null, 0, v3, s0
	s_delay_alu instid0(VALU_DEP_3) | instskip(SKIP_1) | instid1(VALU_DEP_3)
	v_cmp_le_u32_e32 vcc_lo, s56, v14
	v_cndmask_b32_e64 v14, 0, -1, vcc_lo
	v_cmp_le_u32_e32 vcc_lo, s57, v3
	v_cndmask_b32_e64 v15, 0, -1, vcc_lo
	;; [unrolled: 2-line block ×4, first 2 shown]
	v_cmp_eq_u32_e32 vcc_lo, s57, v3
	v_cndmask_b32_e32 v3, v15, v14, vcc_lo
	v_cmp_eq_u32_e32 vcc_lo, s57, v18
	v_add_nc_u64_e32 v[14:15], 2, v[10:11]
	v_cndmask_b32_e32 v7, v19, v7, vcc_lo
	s_delay_alu instid0(VALU_DEP_4) | instskip(NEXT) | instid1(VALU_DEP_2)
	v_cmp_ne_u32_e32 vcc_lo, 0, v3
	v_cmp_ne_u32_e64 s0, 0, v7
	s_delay_alu instid0(VALU_DEP_4) | instskip(NEXT) | instid1(VALU_DEP_1)
	v_dual_cndmask_b32 v3, v17, v15, vcc_lo :: v_dual_cndmask_b32 v7, v16, v14, vcc_lo
	v_cndmask_b32_e64 v3, v11, v3, s0
	s_delay_alu instid0(VALU_DEP_2) | instskip(NEXT) | instid1(VALU_DEP_2)
	v_cndmask_b32_e64 v10, v10, v7, s0
	v_dual_mov_b32 v7, v6 :: v_dual_bitop2_b32 v11, v3, v6 bitop3:0x14
	s_delay_alu instid0(VALU_DEP_2) | instskip(NEXT) | instid1(VALU_DEP_1)
	v_xor_b32_e32 v10, v10, v6
	v_sub_nc_u64_e32 v[10:11], v[10:11], v[6:7]
.LBB3_14:                               ;   in Loop: Header=BB3_4 Depth=1
	s_and_not1_saveexec_b32 s0, s1
	s_cbranch_execz .LBB3_16
; %bb.15:                               ;   in Loop: Header=BB3_4 Depth=1
	v_cvt_f32_u32_e32 v3, s28
	s_sub_co_i32 s1, 0, s28
	v_mov_b32_e32 v11, v2
	s_delay_alu instid0(VALU_DEP_2) | instskip(SKIP_1) | instid1(TRANS32_DEP_1)
	v_rcp_iflag_f32_e32 v3, v3
	v_nop
	v_mul_f32_e32 v3, 0x4f7ffffe, v3
	s_delay_alu instid0(VALU_DEP_1) | instskip(NEXT) | instid1(VALU_DEP_1)
	v_cvt_u32_f32_e32 v3, v3
	v_mul_lo_u32 v6, s1, v3
	s_delay_alu instid0(VALU_DEP_1) | instskip(NEXT) | instid1(VALU_DEP_1)
	v_mul_hi_u32 v6, v3, v6
	v_add_nc_u32_e32 v3, v3, v6
	s_delay_alu instid0(VALU_DEP_1) | instskip(NEXT) | instid1(VALU_DEP_1)
	v_mul_hi_u32 v3, v0, v3
	v_mul_lo_u32 v6, v3, s28
	s_delay_alu instid0(VALU_DEP_1) | instskip(NEXT) | instid1(VALU_DEP_1)
	v_sub_nc_u32_e32 v6, v0, v6
	v_subrev_nc_u32_e32 v10, s28, v6
	v_cmp_le_u32_e32 vcc_lo, s28, v6
	s_delay_alu instid0(VALU_DEP_2) | instskip(NEXT) | instid1(VALU_DEP_1)
	v_dual_cndmask_b32 v6, v6, v10 :: v_dual_add_nc_u32 v7, 1, v3
	v_cndmask_b32_e32 v3, v3, v7, vcc_lo
	s_delay_alu instid0(VALU_DEP_2) | instskip(NEXT) | instid1(VALU_DEP_2)
	v_cmp_le_u32_e32 vcc_lo, s28, v6
	v_add_nc_u32_e32 v7, 1, v3
	s_delay_alu instid0(VALU_DEP_1)
	v_cndmask_b32_e32 v10, v3, v7, vcc_lo
.LBB3_16:                               ;   in Loop: Header=BB3_4 Depth=1
	s_or_b32 exec_lo, exec_lo, s0
	v_mul_u64_e32 v[12:13], s[10:11], v[12:13]
	s_mov_b32 s1, exec_lo
	s_delay_alu instid0(VALU_DEP_1) | instskip(NEXT) | instid1(VALU_DEP_1)
	v_sub_nc_u64_e32 v[6:7], v[4:5], v[12:13]
	v_add_nc_u64_e32 v[14:15], s[18:19], v[6:7]
	v_mov_b64_e32 v[6:7], 0
	s_delay_alu instid0(VALU_DEP_2)
	v_cmpx_lt_i64_e64 s[44:45], v[14:15]
	s_cbranch_execz .LBB3_22
; %bb.17:                               ;   in Loop: Header=BB3_4 Depth=1
	v_add_nc_u64_e32 v[6:7], s[52:53], v[14:15]
                                        ; implicit-def: $vgpr16_vgpr17
	s_mov_b32 s0, exec_lo
	s_delay_alu instid0(VALU_DEP_1) | instskip(NEXT) | instid1(VALU_DEP_1)
	v_or_b32_e32 v3, s23, v7
	v_cmpx_ne_u64_e32 0, v[2:3]
	s_xor_b32 s43, exec_lo, s0
	s_cbranch_execz .LBB3_19
; %bb.18:                               ;   in Loop: Header=BB3_4 Depth=1
	s_ashr_i32 s54, s23, 31
	v_dual_mov_b32 v19, v2 :: v_dual_ashrrev_i32 v16, 31, v7
	s_mov_b32 s55, s54
	v_mov_b32_e32 v27, v2
	s_add_nc_u64 s[56:57], s[22:23], s[54:55]
	s_delay_alu instid0(VALU_DEP_2) | instskip(SKIP_1) | instid1(SALU_CYCLE_1)
	v_mov_b32_e32 v17, v16
	s_xor_b64 s[56:57], s[56:57], s[54:55]
	s_cvt_f32_u32 s0, s56
	s_cvt_f32_u32 s2, s57
	s_sub_nc_u64 s[60:61], 0, s[56:57]
	v_add_nc_u64_e32 v[6:7], v[6:7], v[16:17]
	v_mov_b32_e32 v23, v2
	s_fmamk_f32 s0, s2, 0x4f800000, s0
	s_delay_alu instid0(SALU_CYCLE_3) | instskip(NEXT) | instid1(VALU_DEP_2)
	v_s_rcp_f32 s0, s0
	v_xor_b32_e32 v18, v6, v16
	s_delay_alu instid0(VALU_DEP_3) | instskip(NEXT) | instid1(TRANS32_DEP_1)
	v_xor_b32_e32 v22, v7, v16
	s_mul_f32 s0, s0, 0x5f7ffffc
	s_delay_alu instid0(SALU_CYCLE_3) | instskip(NEXT) | instid1(SALU_CYCLE_3)
	s_mul_f32 s2, s0, 0x2f800000
	s_trunc_f32 s2, s2
	s_delay_alu instid0(SALU_CYCLE_3) | instskip(SKIP_1) | instid1(SALU_CYCLE_2)
	s_fmamk_f32 s0, s2, 0xcf800000, s0
	s_cvt_u32_f32 s59, s2
	s_cvt_u32_f32 s58, s0
	s_delay_alu instid0(SALU_CYCLE_3) | instskip(NEXT) | instid1(SALU_CYCLE_1)
	s_mul_u64 s[62:63], s[60:61], s[58:59]
	s_mul_hi_u32 s65, s58, s63
	s_mul_i32 s64, s58, s63
	s_mul_hi_u32 s2, s58, s62
	s_mul_i32 s55, s59, s62
	s_add_nc_u64 s[64:65], s[2:3], s[64:65]
	s_mul_hi_u32 s0, s59, s62
	s_mul_hi_u32 s66, s59, s63
	s_add_co_u32 s2, s64, s55
	s_add_co_ci_u32 s2, s65, s0
	s_mul_i32 s62, s59, s63
	s_add_co_ci_u32 s63, s66, 0
	s_delay_alu instid0(SALU_CYCLE_1) | instskip(NEXT) | instid1(SALU_CYCLE_1)
	s_add_nc_u64 s[62:63], s[2:3], s[62:63]
	s_add_co_u32 s58, s58, s62
	s_cselect_b32 s0, -1, 0
	s_delay_alu instid0(SALU_CYCLE_1) | instskip(SKIP_1) | instid1(SALU_CYCLE_1)
	s_cmp_lg_u32 s0, 0
	s_add_co_ci_u32 s59, s59, s63
	s_mul_u64 s[60:61], s[60:61], s[58:59]
	s_delay_alu instid0(SALU_CYCLE_1)
	s_mul_hi_u32 s63, s58, s61
	s_mul_i32 s62, s58, s61
	s_mul_hi_u32 s2, s58, s60
	s_mul_i32 s55, s59, s60
	s_add_nc_u64 s[62:63], s[2:3], s[62:63]
	s_mul_hi_u32 s0, s59, s60
	s_mul_hi_u32 s64, s59, s61
	s_add_co_u32 s2, s62, s55
	s_add_co_ci_u32 s2, s63, s0
	s_mul_i32 s60, s59, s61
	s_add_co_ci_u32 s61, s64, 0
	s_delay_alu instid0(SALU_CYCLE_1) | instskip(NEXT) | instid1(SALU_CYCLE_1)
	s_add_nc_u64 s[60:61], s[2:3], s[60:61]
	s_add_co_u32 s0, s58, s60
	s_cselect_b32 s2, -1, 0
	v_mul_hi_u32 v26, v18, s0
	s_cmp_lg_u32 s2, 0
	s_add_co_ci_u32 s2, s59, s61
	s_and_b64 s[58:59], s[0:1], s[34:35]
	v_mul_u64_e32 v[20:21], s[2:3], v[18:19]
	v_mul_u64_e32 v[6:7], s[58:59], v[22:23]
	;; [unrolled: 1-line block ×3, first 2 shown]
	s_delay_alu instid0(VALU_DEP_3) | instskip(NEXT) | instid1(VALU_DEP_1)
	v_add_nc_u64_e32 v[20:21], v[26:27], v[20:21]
	v_add_co_u32 v3, vcc_lo, v20, v6
	s_delay_alu instid0(VALU_DEP_2) | instskip(NEXT) | instid1(VALU_DEP_4)
	v_add_co_ci_u32_e32 v26, vcc_lo, v21, v7, vcc_lo
	v_add_co_ci_u32_e32 v25, vcc_lo, 0, v25, vcc_lo
	s_delay_alu instid0(VALU_DEP_1) | instskip(NEXT) | instid1(VALU_DEP_1)
	v_add_nc_u64_e32 v[6:7], v[26:27], v[24:25]
	v_mul_u64_e32 v[20:21], s[56:57], v[6:7]
	s_delay_alu instid0(VALU_DEP_1) | instskip(NEXT) | instid1(VALU_DEP_2)
	v_sub_nc_u32_e32 v3, v22, v21
	v_sub_co_u32 v17, vcc_lo, v18, v20
	s_delay_alu instid0(VALU_DEP_1) | instskip(NEXT) | instid1(VALU_DEP_3)
	v_sub_co_ci_u32_e64 v22, null, v22, v21, vcc_lo
	v_subrev_co_ci_u32_e64 v3, null, s57, v3, vcc_lo
	s_delay_alu instid0(VALU_DEP_3) | instskip(SKIP_1) | instid1(VALU_DEP_3)
	v_sub_co_u32 v18, s0, v17, s56
	v_add_nc_u64_e32 v[20:21], 1, v[6:7]
	v_subrev_co_ci_u32_e64 v3, null, 0, v3, s0
	s_delay_alu instid0(VALU_DEP_3) | instskip(SKIP_1) | instid1(VALU_DEP_3)
	v_cmp_le_u32_e32 vcc_lo, s56, v18
	v_cndmask_b32_e64 v18, 0, -1, vcc_lo
	v_cmp_le_u32_e32 vcc_lo, s57, v3
	v_cndmask_b32_e64 v19, 0, -1, vcc_lo
	;; [unrolled: 2-line block ×4, first 2 shown]
	v_cmp_eq_u32_e32 vcc_lo, s57, v3
	v_cndmask_b32_e32 v3, v19, v18, vcc_lo
	v_cmp_eq_u32_e32 vcc_lo, s57, v22
	v_add_nc_u64_e32 v[18:19], 2, v[6:7]
	v_cndmask_b32_e32 v17, v23, v17, vcc_lo
	s_delay_alu instid0(VALU_DEP_4) | instskip(NEXT) | instid1(VALU_DEP_3)
	v_cmp_ne_u32_e32 vcc_lo, 0, v3
	v_cndmask_b32_e32 v3, v21, v19, vcc_lo
	s_delay_alu instid0(VALU_DEP_3) | instskip(SKIP_1) | instid1(VALU_DEP_1)
	v_cmp_ne_u32_e64 s0, 0, v17
	v_dual_cndmask_b32 v17, v20, v18, vcc_lo :: v_dual_bitop2_b32 v16, s54, v16 bitop3:0x14
	v_dual_cndmask_b32 v3, v7, v3, s0 :: v_dual_cndmask_b32 v6, v6, v17, s0
	s_delay_alu instid0(VALU_DEP_1) | instskip(NEXT) | instid1(VALU_DEP_2)
	v_dual_mov_b32 v17, v16 :: v_dual_bitop2_b32 v7, v3, v16 bitop3:0x14
	v_xor_b32_e32 v6, v6, v16
	s_delay_alu instid0(VALU_DEP_1)
	v_sub_nc_u64_e32 v[16:17], v[6:7], v[16:17]
                                        ; implicit-def: $vgpr6_vgpr7
.LBB3_19:                               ;   in Loop: Header=BB3_4 Depth=1
	s_and_not1_saveexec_b32 s0, s43
	s_cbranch_execz .LBB3_21
; %bb.20:                               ;   in Loop: Header=BB3_4 Depth=1
	v_cvt_f32_u32_e32 v3, s22
	s_sub_co_i32 s2, 0, s22
	v_mov_b32_e32 v17, v2
	s_delay_alu instid0(VALU_DEP_2) | instskip(SKIP_1) | instid1(TRANS32_DEP_1)
	v_rcp_iflag_f32_e32 v3, v3
	v_nop
	v_mul_f32_e32 v3, 0x4f7ffffe, v3
	s_delay_alu instid0(VALU_DEP_1) | instskip(NEXT) | instid1(VALU_DEP_1)
	v_cvt_u32_f32_e32 v3, v3
	v_mul_lo_u32 v7, s2, v3
	s_delay_alu instid0(VALU_DEP_1) | instskip(NEXT) | instid1(VALU_DEP_1)
	v_mul_hi_u32 v7, v3, v7
	v_add_nc_u32_e32 v3, v3, v7
	s_delay_alu instid0(VALU_DEP_1) | instskip(NEXT) | instid1(VALU_DEP_1)
	v_mul_hi_u32 v3, v6, v3
	v_mul_lo_u32 v7, v3, s22
	s_delay_alu instid0(VALU_DEP_1) | instskip(SKIP_1) | instid1(VALU_DEP_2)
	v_sub_nc_u32_e32 v6, v6, v7
	v_add_nc_u32_e32 v7, 1, v3
	v_subrev_nc_u32_e32 v16, s22, v6
	v_cmp_le_u32_e32 vcc_lo, s22, v6
	s_delay_alu instid0(VALU_DEP_2) | instskip(NEXT) | instid1(VALU_DEP_1)
	v_dual_cndmask_b32 v6, v6, v16 :: v_dual_cndmask_b32 v3, v3, v7
	v_cmp_le_u32_e32 vcc_lo, s22, v6
	s_delay_alu instid0(VALU_DEP_2) | instskip(NEXT) | instid1(VALU_DEP_1)
	v_add_nc_u32_e32 v7, 1, v3
	v_cndmask_b32_e32 v16, v3, v7, vcc_lo
.LBB3_21:                               ;   in Loop: Header=BB3_4 Depth=1
	s_or_b32 exec_lo, exec_lo, s0
	s_delay_alu instid0(VALU_DEP_1)
	v_add_nc_u64_e32 v[6:7], 1, v[16:17]
.LBB3_22:                               ;   in Loop: Header=BB3_4 Depth=1
	s_or_b32 exec_lo, exec_lo, s1
	v_or_b32_e32 v3, s23, v15
                                        ; implicit-def: $vgpr20_vgpr21
	s_mov_b32 s0, exec_lo
	s_delay_alu instid0(VALU_DEP_1)
	v_cmpx_ne_u64_e32 0, v[2:3]
	s_xor_b32 s1, exec_lo, s0
	s_cbranch_execz .LBB3_24
; %bb.23:                               ;   in Loop: Header=BB3_4 Depth=1
	s_ashr_i32 s54, s23, 31
	v_dual_mov_b32 v19, v2 :: v_dual_ashrrev_i32 v16, 31, v15
	s_mov_b32 s55, s54
	v_mov_b32_e32 v27, v2
	s_add_nc_u64 s[56:57], s[22:23], s[54:55]
	s_delay_alu instid0(VALU_DEP_2) | instskip(SKIP_1) | instid1(SALU_CYCLE_1)
	v_mov_b32_e32 v17, v16
	s_xor_b64 s[56:57], s[56:57], s[54:55]
	s_cvt_f32_u32 s0, s56
	s_cvt_f32_u32 s2, s57
	s_sub_nc_u64 s[60:61], 0, s[56:57]
	v_add_nc_u64_e32 v[14:15], v[14:15], v[16:17]
	v_mov_b32_e32 v23, v2
	s_fmamk_f32 s0, s2, 0x4f800000, s0
	s_delay_alu instid0(SALU_CYCLE_3) | instskip(NEXT) | instid1(VALU_DEP_2)
	v_s_rcp_f32 s0, s0
	v_xor_b32_e32 v18, v14, v16
	s_delay_alu instid0(VALU_DEP_3) | instskip(NEXT) | instid1(TRANS32_DEP_1)
	v_xor_b32_e32 v22, v15, v16
	s_mul_f32 s0, s0, 0x5f7ffffc
	s_delay_alu instid0(SALU_CYCLE_3) | instskip(NEXT) | instid1(SALU_CYCLE_3)
	s_mul_f32 s2, s0, 0x2f800000
	s_trunc_f32 s2, s2
	s_delay_alu instid0(SALU_CYCLE_3) | instskip(SKIP_1) | instid1(SALU_CYCLE_2)
	s_fmamk_f32 s0, s2, 0xcf800000, s0
	s_cvt_u32_f32 s59, s2
	s_cvt_u32_f32 s58, s0
	s_delay_alu instid0(SALU_CYCLE_3) | instskip(NEXT) | instid1(SALU_CYCLE_1)
	s_mul_u64 s[62:63], s[60:61], s[58:59]
	s_mul_hi_u32 s65, s58, s63
	s_mul_i32 s64, s58, s63
	s_mul_hi_u32 s2, s58, s62
	s_mul_i32 s43, s59, s62
	s_add_nc_u64 s[64:65], s[2:3], s[64:65]
	s_mul_hi_u32 s0, s59, s62
	s_mul_hi_u32 s55, s59, s63
	s_add_co_u32 s2, s64, s43
	s_add_co_ci_u32 s2, s65, s0
	s_mul_i32 s62, s59, s63
	s_add_co_ci_u32 s63, s55, 0
	s_delay_alu instid0(SALU_CYCLE_1) | instskip(NEXT) | instid1(SALU_CYCLE_1)
	s_add_nc_u64 s[62:63], s[2:3], s[62:63]
	s_add_co_u32 s58, s58, s62
	s_cselect_b32 s0, -1, 0
	s_delay_alu instid0(SALU_CYCLE_1) | instskip(SKIP_1) | instid1(SALU_CYCLE_1)
	s_cmp_lg_u32 s0, 0
	s_add_co_ci_u32 s59, s59, s63
	s_mul_u64 s[60:61], s[60:61], s[58:59]
	s_delay_alu instid0(SALU_CYCLE_1)
	s_mul_hi_u32 s63, s58, s61
	s_mul_i32 s62, s58, s61
	s_mul_hi_u32 s2, s58, s60
	s_mul_i32 s43, s59, s60
	s_add_nc_u64 s[62:63], s[2:3], s[62:63]
	s_mul_hi_u32 s0, s59, s60
	s_mul_hi_u32 s55, s59, s61
	s_add_co_u32 s2, s62, s43
	s_add_co_ci_u32 s2, s63, s0
	s_mul_i32 s60, s59, s61
	s_add_co_ci_u32 s61, s55, 0
	s_delay_alu instid0(SALU_CYCLE_1) | instskip(NEXT) | instid1(SALU_CYCLE_1)
	s_add_nc_u64 s[60:61], s[2:3], s[60:61]
	s_add_co_u32 s0, s58, s60
	s_cselect_b32 s2, -1, 0
	v_mul_hi_u32 v26, v18, s0
	s_cmp_lg_u32 s2, 0
	s_add_co_ci_u32 s2, s59, s61
	s_and_b64 s[58:59], s[0:1], s[34:35]
	v_mul_u64_e32 v[20:21], s[2:3], v[18:19]
	v_mul_u64_e32 v[14:15], s[58:59], v[22:23]
	;; [unrolled: 1-line block ×3, first 2 shown]
	s_delay_alu instid0(VALU_DEP_3) | instskip(NEXT) | instid1(VALU_DEP_1)
	v_add_nc_u64_e32 v[20:21], v[26:27], v[20:21]
	v_add_co_u32 v3, vcc_lo, v20, v14
	s_delay_alu instid0(VALU_DEP_2) | instskip(NEXT) | instid1(VALU_DEP_4)
	v_add_co_ci_u32_e32 v26, vcc_lo, v21, v15, vcc_lo
	v_add_co_ci_u32_e32 v25, vcc_lo, 0, v25, vcc_lo
	s_delay_alu instid0(VALU_DEP_1) | instskip(NEXT) | instid1(VALU_DEP_1)
	v_add_nc_u64_e32 v[14:15], v[26:27], v[24:25]
	v_mul_u64_e32 v[20:21], s[56:57], v[14:15]
	s_delay_alu instid0(VALU_DEP_1) | instskip(NEXT) | instid1(VALU_DEP_2)
	v_sub_nc_u32_e32 v3, v22, v21
	v_sub_co_u32 v17, vcc_lo, v18, v20
	s_delay_alu instid0(VALU_DEP_1) | instskip(NEXT) | instid1(VALU_DEP_3)
	v_sub_co_ci_u32_e64 v22, null, v22, v21, vcc_lo
	v_subrev_co_ci_u32_e64 v3, null, s57, v3, vcc_lo
	s_delay_alu instid0(VALU_DEP_3) | instskip(SKIP_1) | instid1(VALU_DEP_3)
	v_sub_co_u32 v18, s0, v17, s56
	v_add_nc_u64_e32 v[20:21], 1, v[14:15]
	v_subrev_co_ci_u32_e64 v3, null, 0, v3, s0
	s_delay_alu instid0(VALU_DEP_3) | instskip(SKIP_1) | instid1(VALU_DEP_3)
	v_cmp_le_u32_e32 vcc_lo, s56, v18
	v_cndmask_b32_e64 v18, 0, -1, vcc_lo
	v_cmp_le_u32_e32 vcc_lo, s57, v3
	v_cndmask_b32_e64 v19, 0, -1, vcc_lo
	;; [unrolled: 2-line block ×4, first 2 shown]
	v_cmp_eq_u32_e32 vcc_lo, s57, v3
	v_cndmask_b32_e32 v3, v19, v18, vcc_lo
	v_cmp_eq_u32_e32 vcc_lo, s57, v22
	v_add_nc_u64_e32 v[18:19], 2, v[14:15]
	v_cndmask_b32_e32 v17, v23, v17, vcc_lo
	s_delay_alu instid0(VALU_DEP_4) | instskip(NEXT) | instid1(VALU_DEP_3)
	v_cmp_ne_u32_e32 vcc_lo, 0, v3
	v_cndmask_b32_e32 v3, v21, v19, vcc_lo
	s_delay_alu instid0(VALU_DEP_3) | instskip(SKIP_1) | instid1(VALU_DEP_1)
	v_cmp_ne_u32_e64 s0, 0, v17
	v_dual_cndmask_b32 v17, v20, v18, vcc_lo :: v_dual_bitop2_b32 v16, s54, v16 bitop3:0x14
	v_dual_cndmask_b32 v3, v15, v3, s0 :: v_dual_cndmask_b32 v14, v14, v17, s0
	s_delay_alu instid0(VALU_DEP_1) | instskip(NEXT) | instid1(VALU_DEP_2)
	v_dual_mov_b32 v17, v16 :: v_dual_bitop2_b32 v15, v3, v16 bitop3:0x14
	v_xor_b32_e32 v14, v14, v16
	s_delay_alu instid0(VALU_DEP_1)
	v_sub_nc_u64_e32 v[20:21], v[14:15], v[16:17]
                                        ; implicit-def: $vgpr14_vgpr15
.LBB3_24:                               ;   in Loop: Header=BB3_4 Depth=1
	s_and_not1_saveexec_b32 s0, s1
	s_cbranch_execz .LBB3_26
; %bb.25:                               ;   in Loop: Header=BB3_4 Depth=1
	v_cvt_f32_u32_e32 v3, s22
	s_sub_co_i32 s1, 0, s22
	v_mov_b32_e32 v21, v2
	s_delay_alu instid0(VALU_DEP_2) | instskip(SKIP_1) | instid1(TRANS32_DEP_1)
	v_rcp_iflag_f32_e32 v3, v3
	v_nop
	v_mul_f32_e32 v3, 0x4f7ffffe, v3
	s_delay_alu instid0(VALU_DEP_1) | instskip(NEXT) | instid1(VALU_DEP_1)
	v_cvt_u32_f32_e32 v3, v3
	v_mul_lo_u32 v15, s1, v3
	s_delay_alu instid0(VALU_DEP_1) | instskip(NEXT) | instid1(VALU_DEP_1)
	v_mul_hi_u32 v15, v3, v15
	v_add_nc_u32_e32 v3, v3, v15
	s_delay_alu instid0(VALU_DEP_1) | instskip(NEXT) | instid1(VALU_DEP_1)
	v_mul_hi_u32 v3, v14, v3
	v_mul_lo_u32 v15, v3, s22
	s_delay_alu instid0(VALU_DEP_1) | instskip(SKIP_1) | instid1(VALU_DEP_2)
	v_sub_nc_u32_e32 v14, v14, v15
	v_add_nc_u32_e32 v15, 1, v3
	v_subrev_nc_u32_e32 v16, s22, v14
	v_cmp_le_u32_e32 vcc_lo, s22, v14
	s_delay_alu instid0(VALU_DEP_2) | instskip(NEXT) | instid1(VALU_DEP_1)
	v_dual_cndmask_b32 v14, v14, v16 :: v_dual_cndmask_b32 v3, v3, v15
	v_cmp_le_u32_e32 vcc_lo, s22, v14
	s_delay_alu instid0(VALU_DEP_2) | instskip(NEXT) | instid1(VALU_DEP_1)
	v_add_nc_u32_e32 v15, 1, v3
	v_cndmask_b32_e32 v20, v3, v15, vcc_lo
.LBB3_26:                               ;   in Loop: Header=BB3_4 Depth=1
	s_or_b32 exec_lo, exec_lo, s0
	v_add_nc_u64_e32 v[8:9], s[16:17], v[8:9]
	v_mov_b64_e32 v[14:15], 0
	s_mov_b32 s1, exec_lo
	s_delay_alu instid0(VALU_DEP_2)
	v_cmpx_lt_i64_e64 s[46:47], v[8:9]
	s_cbranch_execz .LBB3_32
; %bb.27:                               ;   in Loop: Header=BB3_4 Depth=1
	v_add_nc_u64_e32 v[14:15], s[50:51], v[8:9]
                                        ; implicit-def: $vgpr16_vgpr17
	s_mov_b32 s0, exec_lo
	s_delay_alu instid0(VALU_DEP_1) | instskip(NEXT) | instid1(VALU_DEP_1)
	v_or_b32_e32 v3, s21, v15
	v_cmpx_ne_u64_e32 0, v[2:3]
	s_xor_b32 s43, exec_lo, s0
	s_cbranch_execz .LBB3_29
; %bb.28:                               ;   in Loop: Header=BB3_4 Depth=1
	s_ashr_i32 s54, s21, 31
	v_dual_mov_b32 v19, v2 :: v_dual_ashrrev_i32 v16, 31, v15
	s_mov_b32 s55, s54
	s_delay_alu instid0(SALU_CYCLE_1) | instskip(NEXT) | instid1(VALU_DEP_1)
	s_add_nc_u64 s[56:57], s[20:21], s[54:55]
	v_mov_b32_e32 v17, v16
	s_xor_b64 s[56:57], s[56:57], s[54:55]
	s_delay_alu instid0(SALU_CYCLE_1)
	s_cvt_f32_u32 s0, s56
	s_cvt_f32_u32 s2, s57
	s_sub_nc_u64 s[60:61], 0, s[56:57]
	v_add_nc_u64_e32 v[14:15], v[14:15], v[16:17]
	v_mov_b32_e32 v25, v2
	s_fmamk_f32 s0, s2, 0x4f800000, s0
	s_delay_alu instid0(SALU_CYCLE_3) | instskip(NEXT) | instid1(VALU_DEP_2)
	v_s_rcp_f32 s0, s0
	v_xor_b32_e32 v18, v14, v16
	s_delay_alu instid0(VALU_DEP_3) | instskip(NEXT) | instid1(TRANS32_DEP_1)
	v_dual_mov_b32 v29, v2 :: v_dual_bitop2_b32 v24, v15, v16 bitop3:0x14
	s_mul_f32 s0, s0, 0x5f7ffffc
	s_delay_alu instid0(SALU_CYCLE_3) | instskip(NEXT) | instid1(SALU_CYCLE_3)
	s_mul_f32 s2, s0, 0x2f800000
	s_trunc_f32 s2, s2
	s_delay_alu instid0(SALU_CYCLE_3) | instskip(SKIP_1) | instid1(SALU_CYCLE_2)
	s_fmamk_f32 s0, s2, 0xcf800000, s0
	s_cvt_u32_f32 s59, s2
	s_cvt_u32_f32 s58, s0
	s_delay_alu instid0(SALU_CYCLE_3) | instskip(NEXT) | instid1(SALU_CYCLE_1)
	s_mul_u64 s[62:63], s[60:61], s[58:59]
	s_mul_hi_u32 s65, s58, s63
	s_mul_i32 s64, s58, s63
	s_mul_hi_u32 s2, s58, s62
	s_mul_i32 s55, s59, s62
	s_add_nc_u64 s[64:65], s[2:3], s[64:65]
	s_mul_hi_u32 s0, s59, s62
	s_mul_hi_u32 s66, s59, s63
	s_add_co_u32 s2, s64, s55
	s_add_co_ci_u32 s2, s65, s0
	s_mul_i32 s62, s59, s63
	s_add_co_ci_u32 s63, s66, 0
	s_delay_alu instid0(SALU_CYCLE_1) | instskip(NEXT) | instid1(SALU_CYCLE_1)
	s_add_nc_u64 s[62:63], s[2:3], s[62:63]
	s_add_co_u32 s58, s58, s62
	s_cselect_b32 s0, -1, 0
	s_delay_alu instid0(SALU_CYCLE_1) | instskip(SKIP_1) | instid1(SALU_CYCLE_1)
	s_cmp_lg_u32 s0, 0
	s_add_co_ci_u32 s59, s59, s63
	s_mul_u64 s[60:61], s[60:61], s[58:59]
	s_delay_alu instid0(SALU_CYCLE_1)
	s_mul_hi_u32 s63, s58, s61
	s_mul_i32 s62, s58, s61
	s_mul_hi_u32 s2, s58, s60
	s_mul_i32 s55, s59, s60
	s_add_nc_u64 s[62:63], s[2:3], s[62:63]
	s_mul_hi_u32 s0, s59, s60
	s_mul_hi_u32 s64, s59, s61
	s_add_co_u32 s2, s62, s55
	s_add_co_ci_u32 s2, s63, s0
	s_mul_i32 s60, s59, s61
	s_add_co_ci_u32 s61, s64, 0
	s_delay_alu instid0(SALU_CYCLE_1) | instskip(NEXT) | instid1(SALU_CYCLE_1)
	s_add_nc_u64 s[60:61], s[2:3], s[60:61]
	s_add_co_u32 s0, s58, s60
	s_cselect_b32 s2, -1, 0
	v_mul_hi_u32 v28, v18, s0
	s_cmp_lg_u32 s2, 0
	s_add_co_ci_u32 s2, s59, s61
	s_and_b64 s[58:59], s[0:1], s[34:35]
	v_mul_u64_e32 v[22:23], s[2:3], v[18:19]
	v_mul_u64_e32 v[14:15], s[58:59], v[24:25]
	;; [unrolled: 1-line block ×3, first 2 shown]
	s_delay_alu instid0(VALU_DEP_3) | instskip(NEXT) | instid1(VALU_DEP_1)
	v_add_nc_u64_e32 v[22:23], v[28:29], v[22:23]
	v_add_co_u32 v3, vcc_lo, v22, v14
	s_delay_alu instid0(VALU_DEP_2) | instskip(NEXT) | instid1(VALU_DEP_4)
	v_add_co_ci_u32_e32 v28, vcc_lo, v23, v15, vcc_lo
	v_add_co_ci_u32_e32 v27, vcc_lo, 0, v27, vcc_lo
	s_delay_alu instid0(VALU_DEP_1) | instskip(NEXT) | instid1(VALU_DEP_1)
	v_add_nc_u64_e32 v[14:15], v[28:29], v[26:27]
	v_mul_u64_e32 v[22:23], s[56:57], v[14:15]
	s_delay_alu instid0(VALU_DEP_1) | instskip(NEXT) | instid1(VALU_DEP_2)
	v_sub_nc_u32_e32 v3, v24, v23
	v_sub_co_u32 v17, vcc_lo, v18, v22
	s_delay_alu instid0(VALU_DEP_1) | instskip(NEXT) | instid1(VALU_DEP_3)
	v_sub_co_ci_u32_e64 v24, null, v24, v23, vcc_lo
	v_subrev_co_ci_u32_e64 v3, null, s57, v3, vcc_lo
	s_delay_alu instid0(VALU_DEP_3) | instskip(SKIP_1) | instid1(VALU_DEP_3)
	v_sub_co_u32 v18, s0, v17, s56
	v_add_nc_u64_e32 v[22:23], 1, v[14:15]
	v_subrev_co_ci_u32_e64 v3, null, 0, v3, s0
	s_delay_alu instid0(VALU_DEP_3) | instskip(SKIP_1) | instid1(VALU_DEP_3)
	v_cmp_le_u32_e32 vcc_lo, s56, v18
	v_cndmask_b32_e64 v18, 0, -1, vcc_lo
	v_cmp_le_u32_e32 vcc_lo, s57, v3
	v_cndmask_b32_e64 v19, 0, -1, vcc_lo
	;; [unrolled: 2-line block ×4, first 2 shown]
	v_cmp_eq_u32_e32 vcc_lo, s57, v3
	v_cndmask_b32_e32 v3, v19, v18, vcc_lo
	v_cmp_eq_u32_e32 vcc_lo, s57, v24
	v_add_nc_u64_e32 v[18:19], 2, v[14:15]
	v_cndmask_b32_e32 v17, v25, v17, vcc_lo
	s_delay_alu instid0(VALU_DEP_4) | instskip(NEXT) | instid1(VALU_DEP_2)
	v_cmp_ne_u32_e32 vcc_lo, 0, v3
	v_cmp_ne_u32_e64 s0, 0, v17
	s_delay_alu instid0(VALU_DEP_4) | instskip(NEXT) | instid1(VALU_DEP_1)
	v_dual_cndmask_b32 v3, v23, v19, vcc_lo :: v_dual_cndmask_b32 v17, v22, v18, vcc_lo
	v_dual_cndmask_b32 v3, v15, v3, s0 :: v_dual_bitop2_b32 v16, s54, v16 bitop3:0x14
	s_delay_alu instid0(VALU_DEP_1) | instskip(NEXT) | instid1(VALU_DEP_2)
	v_dual_cndmask_b32 v14, v14, v17, s0 :: v_dual_mov_b32 v17, v16
	v_xor_b32_e32 v15, v3, v16
	s_delay_alu instid0(VALU_DEP_2) | instskip(NEXT) | instid1(VALU_DEP_1)
	v_xor_b32_e32 v14, v14, v16
	v_sub_nc_u64_e32 v[16:17], v[14:15], v[16:17]
                                        ; implicit-def: $vgpr14_vgpr15
.LBB3_29:                               ;   in Loop: Header=BB3_4 Depth=1
	s_and_not1_saveexec_b32 s0, s43
	s_cbranch_execz .LBB3_31
; %bb.30:                               ;   in Loop: Header=BB3_4 Depth=1
	v_cvt_f32_u32_e32 v3, s20
	s_sub_co_i32 s2, 0, s20
	v_mov_b32_e32 v17, v2
	s_delay_alu instid0(VALU_DEP_2) | instskip(SKIP_1) | instid1(TRANS32_DEP_1)
	v_rcp_iflag_f32_e32 v3, v3
	v_nop
	v_mul_f32_e32 v3, 0x4f7ffffe, v3
	s_delay_alu instid0(VALU_DEP_1) | instskip(NEXT) | instid1(VALU_DEP_1)
	v_cvt_u32_f32_e32 v3, v3
	v_mul_lo_u32 v15, s2, v3
	s_delay_alu instid0(VALU_DEP_1) | instskip(NEXT) | instid1(VALU_DEP_1)
	v_mul_hi_u32 v15, v3, v15
	v_add_nc_u32_e32 v3, v3, v15
	s_delay_alu instid0(VALU_DEP_1) | instskip(NEXT) | instid1(VALU_DEP_1)
	v_mul_hi_u32 v3, v14, v3
	v_mul_lo_u32 v15, v3, s20
	s_delay_alu instid0(VALU_DEP_1) | instskip(SKIP_1) | instid1(VALU_DEP_2)
	v_sub_nc_u32_e32 v14, v14, v15
	v_add_nc_u32_e32 v15, 1, v3
	v_subrev_nc_u32_e32 v16, s20, v14
	v_cmp_le_u32_e32 vcc_lo, s20, v14
	s_delay_alu instid0(VALU_DEP_2) | instskip(NEXT) | instid1(VALU_DEP_1)
	v_dual_cndmask_b32 v14, v14, v16 :: v_dual_cndmask_b32 v3, v3, v15
	v_cmp_le_u32_e32 vcc_lo, s20, v14
	s_delay_alu instid0(VALU_DEP_2) | instskip(NEXT) | instid1(VALU_DEP_1)
	v_add_nc_u32_e32 v15, 1, v3
	v_cndmask_b32_e32 v16, v3, v15, vcc_lo
.LBB3_31:                               ;   in Loop: Header=BB3_4 Depth=1
	s_or_b32 exec_lo, exec_lo, s0
	s_delay_alu instid0(VALU_DEP_1)
	v_add_nc_u64_e32 v[14:15], 1, v[16:17]
.LBB3_32:                               ;   in Loop: Header=BB3_4 Depth=1
	s_or_b32 exec_lo, exec_lo, s1
	v_or_b32_e32 v3, s21, v9
                                        ; implicit-def: $vgpr16_vgpr17
	s_mov_b32 s0, exec_lo
	s_delay_alu instid0(VALU_DEP_1)
	v_cmpx_ne_u64_e32 0, v[2:3]
	s_xor_b32 s1, exec_lo, s0
	s_cbranch_execz .LBB3_34
; %bb.33:                               ;   in Loop: Header=BB3_4 Depth=1
	s_ashr_i32 s54, s21, 31
	v_dual_mov_b32 v23, v2 :: v_dual_ashrrev_i32 v16, 31, v9
	s_mov_b32 s55, s54
	v_mov_b32_e32 v31, v2
	s_add_nc_u64 s[56:57], s[20:21], s[54:55]
	s_delay_alu instid0(VALU_DEP_2) | instskip(SKIP_1) | instid1(SALU_CYCLE_1)
	v_mov_b32_e32 v17, v16
	s_xor_b64 s[56:57], s[56:57], s[54:55]
	s_cvt_f32_u32 s0, s56
	s_cvt_f32_u32 s2, s57
	s_sub_nc_u64 s[60:61], 0, s[56:57]
	v_add_nc_u64_e32 v[18:19], v[8:9], v[16:17]
	v_mov_b32_e32 v27, v2
	s_fmamk_f32 s0, s2, 0x4f800000, s0
	s_delay_alu instid0(SALU_CYCLE_3) | instskip(NEXT) | instid1(VALU_DEP_2)
	v_s_rcp_f32 s0, s0
	v_xor_b32_e32 v22, v18, v16
	s_delay_alu instid0(VALU_DEP_3) | instskip(NEXT) | instid1(TRANS32_DEP_1)
	v_xor_b32_e32 v26, v19, v16
	s_mul_f32 s0, s0, 0x5f7ffffc
	s_delay_alu instid0(SALU_CYCLE_3) | instskip(NEXT) | instid1(SALU_CYCLE_3)
	s_mul_f32 s2, s0, 0x2f800000
	s_trunc_f32 s2, s2
	s_delay_alu instid0(SALU_CYCLE_3) | instskip(SKIP_1) | instid1(SALU_CYCLE_2)
	s_fmamk_f32 s0, s2, 0xcf800000, s0
	s_cvt_u32_f32 s59, s2
	s_cvt_u32_f32 s58, s0
	s_delay_alu instid0(SALU_CYCLE_3) | instskip(NEXT) | instid1(SALU_CYCLE_1)
	s_mul_u64 s[62:63], s[60:61], s[58:59]
	s_mul_hi_u32 s65, s58, s63
	s_mul_i32 s64, s58, s63
	s_mul_hi_u32 s2, s58, s62
	s_mul_i32 s43, s59, s62
	s_add_nc_u64 s[64:65], s[2:3], s[64:65]
	s_mul_hi_u32 s0, s59, s62
	s_mul_hi_u32 s55, s59, s63
	s_add_co_u32 s2, s64, s43
	s_add_co_ci_u32 s2, s65, s0
	s_mul_i32 s62, s59, s63
	s_add_co_ci_u32 s63, s55, 0
	s_delay_alu instid0(SALU_CYCLE_1) | instskip(NEXT) | instid1(SALU_CYCLE_1)
	s_add_nc_u64 s[62:63], s[2:3], s[62:63]
	s_add_co_u32 s58, s58, s62
	s_cselect_b32 s0, -1, 0
	s_delay_alu instid0(SALU_CYCLE_1) | instskip(SKIP_1) | instid1(SALU_CYCLE_1)
	s_cmp_lg_u32 s0, 0
	s_add_co_ci_u32 s59, s59, s63
	s_mul_u64 s[60:61], s[60:61], s[58:59]
	s_delay_alu instid0(SALU_CYCLE_1)
	s_mul_hi_u32 s63, s58, s61
	s_mul_i32 s62, s58, s61
	s_mul_hi_u32 s2, s58, s60
	s_mul_i32 s43, s59, s60
	s_add_nc_u64 s[62:63], s[2:3], s[62:63]
	s_mul_hi_u32 s0, s59, s60
	s_mul_hi_u32 s55, s59, s61
	s_add_co_u32 s2, s62, s43
	s_add_co_ci_u32 s2, s63, s0
	s_mul_i32 s60, s59, s61
	s_add_co_ci_u32 s61, s55, 0
	s_delay_alu instid0(SALU_CYCLE_1) | instskip(NEXT) | instid1(SALU_CYCLE_1)
	s_add_nc_u64 s[60:61], s[2:3], s[60:61]
	s_add_co_u32 s0, s58, s60
	s_cselect_b32 s2, -1, 0
	v_mul_hi_u32 v30, v22, s0
	s_cmp_lg_u32 s2, 0
	s_add_co_ci_u32 s2, s59, s61
	s_and_b64 s[58:59], s[0:1], s[34:35]
	v_mul_u64_e32 v[24:25], s[2:3], v[22:23]
	v_mul_u64_e32 v[18:19], s[58:59], v[26:27]
	;; [unrolled: 1-line block ×3, first 2 shown]
	s_delay_alu instid0(VALU_DEP_3) | instskip(NEXT) | instid1(VALU_DEP_1)
	v_add_nc_u64_e32 v[24:25], v[30:31], v[24:25]
	v_add_co_u32 v3, vcc_lo, v24, v18
	s_delay_alu instid0(VALU_DEP_2) | instskip(NEXT) | instid1(VALU_DEP_4)
	v_add_co_ci_u32_e32 v30, vcc_lo, v25, v19, vcc_lo
	v_add_co_ci_u32_e32 v29, vcc_lo, 0, v29, vcc_lo
	s_delay_alu instid0(VALU_DEP_1) | instskip(NEXT) | instid1(VALU_DEP_1)
	v_add_nc_u64_e32 v[18:19], v[30:31], v[28:29]
	v_mul_u64_e32 v[24:25], s[56:57], v[18:19]
	s_delay_alu instid0(VALU_DEP_1) | instskip(NEXT) | instid1(VALU_DEP_2)
	v_sub_nc_u32_e32 v3, v26, v25
	v_sub_co_u32 v17, vcc_lo, v22, v24
	s_delay_alu instid0(VALU_DEP_1) | instskip(NEXT) | instid1(VALU_DEP_3)
	v_sub_co_ci_u32_e64 v26, null, v26, v25, vcc_lo
	v_subrev_co_ci_u32_e64 v3, null, s57, v3, vcc_lo
	s_delay_alu instid0(VALU_DEP_3) | instskip(SKIP_1) | instid1(VALU_DEP_3)
	v_sub_co_u32 v22, s0, v17, s56
	v_add_nc_u64_e32 v[24:25], 1, v[18:19]
	v_subrev_co_ci_u32_e64 v3, null, 0, v3, s0
	s_delay_alu instid0(VALU_DEP_3) | instskip(SKIP_1) | instid1(VALU_DEP_3)
	v_cmp_le_u32_e32 vcc_lo, s56, v22
	v_cndmask_b32_e64 v22, 0, -1, vcc_lo
	v_cmp_le_u32_e32 vcc_lo, s57, v3
	v_cndmask_b32_e64 v23, 0, -1, vcc_lo
	v_cmp_le_u32_e32 vcc_lo, s56, v17
	v_cndmask_b32_e64 v17, 0, -1, vcc_lo
	v_cmp_le_u32_e32 vcc_lo, s57, v26
	v_cndmask_b32_e64 v27, 0, -1, vcc_lo
	v_cmp_eq_u32_e32 vcc_lo, s57, v3
	v_cndmask_b32_e32 v3, v23, v22, vcc_lo
	v_cmp_eq_u32_e32 vcc_lo, s57, v26
	v_add_nc_u64_e32 v[22:23], 2, v[18:19]
	v_cndmask_b32_e32 v17, v27, v17, vcc_lo
	s_delay_alu instid0(VALU_DEP_4) | instskip(NEXT) | instid1(VALU_DEP_3)
	v_cmp_ne_u32_e32 vcc_lo, 0, v3
	v_cndmask_b32_e32 v3, v25, v23, vcc_lo
	s_delay_alu instid0(VALU_DEP_3) | instskip(SKIP_1) | instid1(VALU_DEP_1)
	v_cmp_ne_u32_e64 s0, 0, v17
	v_dual_cndmask_b32 v17, v24, v22, vcc_lo :: v_dual_bitop2_b32 v16, s54, v16 bitop3:0x14
	v_dual_cndmask_b32 v3, v19, v3, s0 :: v_dual_cndmask_b32 v18, v18, v17, s0
	s_delay_alu instid0(VALU_DEP_1) | instskip(NEXT) | instid1(VALU_DEP_2)
	v_dual_mov_b32 v17, v16 :: v_dual_bitop2_b32 v19, v3, v16 bitop3:0x14
	v_xor_b32_e32 v18, v18, v16
	s_delay_alu instid0(VALU_DEP_1)
	v_sub_nc_u64_e32 v[16:17], v[18:19], v[16:17]
.LBB3_34:                               ;   in Loop: Header=BB3_4 Depth=1
	s_and_not1_saveexec_b32 s0, s1
	s_cbranch_execz .LBB3_36
; %bb.35:                               ;   in Loop: Header=BB3_4 Depth=1
	v_cvt_f32_u32_e32 v3, s20
	s_sub_co_i32 s1, 0, s20
	s_delay_alu instid0(VALU_DEP_1) | instskip(SKIP_1) | instid1(TRANS32_DEP_1)
	v_rcp_iflag_f32_e32 v3, v3
	v_nop
	v_mul_f32_e32 v3, 0x4f7ffffe, v3
	s_delay_alu instid0(VALU_DEP_1) | instskip(NEXT) | instid1(VALU_DEP_1)
	v_cvt_u32_f32_e32 v3, v3
	v_mul_lo_u32 v16, s1, v3
	s_delay_alu instid0(VALU_DEP_1) | instskip(NEXT) | instid1(VALU_DEP_1)
	v_mul_hi_u32 v16, v3, v16
	v_add_nc_u32_e32 v3, v3, v16
	s_delay_alu instid0(VALU_DEP_1) | instskip(NEXT) | instid1(VALU_DEP_1)
	v_mul_hi_u32 v3, v8, v3
	v_mul_lo_u32 v16, v3, s20
	s_delay_alu instid0(VALU_DEP_1) | instskip(NEXT) | instid1(VALU_DEP_1)
	v_dual_add_nc_u32 v17, 1, v3 :: v_dual_sub_nc_u32 v16, v8, v16
	v_subrev_nc_u32_e32 v18, s20, v16
	v_cmp_le_u32_e32 vcc_lo, s20, v16
	s_delay_alu instid0(VALU_DEP_2) | instskip(NEXT) | instid1(VALU_DEP_1)
	v_dual_cndmask_b32 v16, v16, v18 :: v_dual_cndmask_b32 v3, v3, v17
	v_cmp_le_u32_e32 vcc_lo, s20, v16
	s_delay_alu instid0(VALU_DEP_2) | instskip(NEXT) | instid1(VALU_DEP_1)
	v_add_nc_u32_e32 v17, 1, v3
	v_dual_cndmask_b32 v16, v3, v17 :: v_dual_mov_b32 v17, v2
.LBB3_36:                               ;   in Loop: Header=BB3_4 Depth=1
	s_or_b32 exec_lo, exec_lo, s0
	s_delay_alu instid0(VALU_DEP_1) | instskip(SKIP_2) | instid1(VALU_DEP_2)
	v_add_nc_u64_e32 v[16:17], 1, v[16:17]
	v_mov_b64_e32 v[18:19], 0
	s_mov_b32 s43, exec_lo
	v_min_i64 v[16:17], v[16:17], s[36:37]
	s_delay_alu instid0(VALU_DEP_1)
	v_cmpx_lt_i64_e64 v[14:15], v[16:17]
	s_cbranch_execz .LBB3_3
; %bb.37:                               ;   in Loop: Header=BB3_4 Depth=1
	v_add_nc_u64_e32 v[18:19], 1, v[20:21]
	v_mul_u64_e32 v[22:23], s[22:23], v[6:7]
	v_mul_u64_e32 v[10:11], s[12:13], v[10:11]
	s_mov_b32 s58, 0
	s_delay_alu instid0(VALU_DEP_3) | instskip(SKIP_1) | instid1(VALU_DEP_1)
	v_min_i64 v[20:21], v[18:19], s[38:39]
	v_add_nc_u64_e32 v[18:19], s[18:19], v[4:5]
	v_sub_nc_u64_e32 v[18:19], v[18:19], v[22:23]
	v_lshl_add_u64 v[22:23], v[6:7], 3, s[6:7]
	s_delay_alu instid0(VALU_DEP_4) | instskip(NEXT) | instid1(VALU_DEP_3)
	v_cmp_lt_i64_e64 s0, v[6:7], v[20:21]
	v_sub_nc_u64_e32 v[12:13], v[18:19], v[12:13]
	v_mov_b64_e32 v[18:19], 0
	s_branch .LBB3_40
.LBB3_38:                               ;   in Loop: Header=BB3_40 Depth=2
	s_or_b32 exec_lo, exec_lo, s60
.LBB3_39:                               ;   in Loop: Header=BB3_40 Depth=2
	s_delay_alu instid0(SALU_CYCLE_1) | instskip(SKIP_1) | instid1(VALU_DEP_1)
	s_or_b32 exec_lo, exec_lo, s59
	v_add_nc_u64_e32 v[14:15], 1, v[14:15]
	v_cmp_ge_i64_e32 vcc_lo, v[14:15], v[16:17]
	s_or_b32 s58, vcc_lo, s58
	s_delay_alu instid0(SALU_CYCLE_1)
	s_and_not1_b32 exec_lo, exec_lo, s58
	s_cbranch_execz .LBB3_2
.LBB3_40:                               ;   Parent Loop BB3_4 Depth=1
                                        ; =>  This Loop Header: Depth=2
                                        ;       Child Loop BB3_48 Depth 3
	s_delay_alu instid0(VALU_DEP_3)
	s_and_saveexec_b32 s59, s0
	s_cbranch_execz .LBB3_39
; %bb.41:                               ;   in Loop: Header=BB3_40 Depth=2
	v_mul_u64_e32 v[24:25], s[20:21], v[14:15]
	s_mov_b32 s1, exec_lo
	s_delay_alu instid0(VALU_DEP_1) | instskip(NEXT) | instid1(VALU_DEP_1)
	v_sub_nc_u64_e32 v[26:27], v[8:9], v[24:25]
                                        ; implicit-def: $vgpr24_vgpr25
	v_or_b32_e32 v3, s25, v27
	s_delay_alu instid0(VALU_DEP_1)
	v_cmpx_ne_u64_e32 0, v[2:3]
	s_xor_b32 s60, exec_lo, s1
	s_cbranch_execz .LBB3_43
; %bb.42:                               ;   in Loop: Header=BB3_40 Depth=2
	s_ashr_i32 s54, s25, 31
	v_dual_mov_b32 v31, v2 :: v_dual_ashrrev_i32 v24, 31, v27
	s_mov_b32 s55, s54
	v_mov_b32_e32 v37, v2
	s_add_nc_u64 s[56:57], s[24:25], s[54:55]
	s_delay_alu instid0(VALU_DEP_2)
	v_mov_b32_e32 v25, v24
	s_xor_b64 s[56:57], s[56:57], s[54:55]
	v_mov_b32_e32 v41, v2
	s_cvt_f32_u32 s1, s56
	s_cvt_f32_u32 s2, s57
	s_sub_nc_u64 s[64:65], 0, s[56:57]
	v_add_nc_u64_e32 v[28:29], v[26:27], v[24:25]
	s_delay_alu instid0(SALU_CYCLE_1) | instskip(NEXT) | instid1(SALU_CYCLE_3)
	s_fmamk_f32 s1, s2, 0x4f800000, s1
	v_s_rcp_f32 s1, s1
	s_delay_alu instid0(VALU_DEP_1) | instskip(NEXT) | instid1(VALU_DEP_2)
	v_xor_b32_e32 v30, v28, v24
	v_xor_b32_e32 v36, v29, v24
	;; [unrolled: 1-line block ×3, first 2 shown]
	s_delay_alu instid0(TRANS32_DEP_1) | instskip(NEXT) | instid1(SALU_CYCLE_3)
	s_mul_f32 s1, s1, 0x5f7ffffc
	s_mul_f32 s2, s1, 0x2f800000
	s_delay_alu instid0(SALU_CYCLE_3) | instskip(NEXT) | instid1(SALU_CYCLE_3)
	s_trunc_f32 s2, s2
	s_fmamk_f32 s1, s2, 0xcf800000, s1
	s_cvt_u32_f32 s63, s2
	s_delay_alu instid0(SALU_CYCLE_2) | instskip(NEXT) | instid1(SALU_CYCLE_3)
	s_cvt_u32_f32 s62, s1
	s_mul_u64 s[66:67], s[64:65], s[62:63]
	s_delay_alu instid0(SALU_CYCLE_1)
	s_mul_hi_u32 s69, s62, s67
	s_mul_i32 s68, s62, s67
	s_mul_hi_u32 s2, s62, s66
	s_mul_i32 s55, s63, s66
	s_add_nc_u64 s[68:69], s[2:3], s[68:69]
	s_mul_hi_u32 s1, s63, s66
	s_mul_hi_u32 s61, s63, s67
	s_add_co_u32 s2, s68, s55
	s_add_co_ci_u32 s2, s69, s1
	s_mul_i32 s66, s63, s67
	s_add_co_ci_u32 s67, s61, 0
	s_delay_alu instid0(SALU_CYCLE_1) | instskip(NEXT) | instid1(SALU_CYCLE_1)
	s_add_nc_u64 s[66:67], s[2:3], s[66:67]
	s_add_co_u32 s62, s62, s66
	s_cselect_b32 s1, -1, 0
	s_delay_alu instid0(SALU_CYCLE_1) | instskip(SKIP_1) | instid1(SALU_CYCLE_1)
	s_cmp_lg_u32 s1, 0
	s_add_co_ci_u32 s63, s63, s67
	s_mul_u64 s[64:65], s[64:65], s[62:63]
	s_delay_alu instid0(SALU_CYCLE_1)
	s_mul_hi_u32 s67, s62, s65
	s_mul_i32 s66, s62, s65
	s_mul_hi_u32 s2, s62, s64
	s_mul_i32 s55, s63, s64
	s_add_nc_u64 s[66:67], s[2:3], s[66:67]
	s_mul_hi_u32 s1, s63, s64
	s_mul_hi_u32 s61, s63, s65
	s_add_co_u32 s2, s66, s55
	s_add_co_ci_u32 s2, s67, s1
	s_mul_i32 s64, s63, s65
	s_add_co_ci_u32 s65, s61, 0
	s_delay_alu instid0(SALU_CYCLE_1) | instskip(NEXT) | instid1(SALU_CYCLE_1)
	s_add_nc_u64 s[64:65], s[2:3], s[64:65]
	s_add_co_u32 s62, s62, s64
	s_cselect_b32 s1, -1, 0
	v_mul_hi_u32 v40, v30, s62
	s_cmp_lg_u32 s1, 0
	s_add_co_ci_u32 s2, s63, s65
	s_and_b64 s[64:65], s[62:63], s[34:35]
	v_mul_u64_e32 v[32:33], s[2:3], v[30:31]
	v_mul_u64_e32 v[28:29], s[64:65], v[36:37]
	;; [unrolled: 1-line block ×3, first 2 shown]
	s_delay_alu instid0(VALU_DEP_3) | instskip(NEXT) | instid1(VALU_DEP_1)
	v_add_nc_u64_e32 v[32:33], v[40:41], v[32:33]
	v_add_co_u32 v3, vcc_lo, v32, v28
	s_delay_alu instid0(VALU_DEP_2) | instskip(NEXT) | instid1(VALU_DEP_4)
	v_add_co_ci_u32_e32 v40, vcc_lo, v33, v29, vcc_lo
	v_add_co_ci_u32_e32 v39, vcc_lo, 0, v39, vcc_lo
	s_delay_alu instid0(VALU_DEP_1) | instskip(NEXT) | instid1(VALU_DEP_1)
	v_add_nc_u64_e32 v[28:29], v[40:41], v[38:39]
	v_mul_u64_e32 v[32:33], s[56:57], v[28:29]
	s_delay_alu instid0(VALU_DEP_1) | instskip(NEXT) | instid1(VALU_DEP_2)
	v_sub_nc_u32_e32 v3, v36, v33
	v_sub_co_u32 v25, vcc_lo, v30, v32
	s_delay_alu instid0(VALU_DEP_1) | instskip(NEXT) | instid1(VALU_DEP_3)
	v_sub_co_ci_u32_e64 v35, null, v36, v33, vcc_lo
	v_subrev_co_ci_u32_e64 v3, null, s57, v3, vcc_lo
	s_delay_alu instid0(VALU_DEP_3) | instskip(SKIP_1) | instid1(VALU_DEP_3)
	v_sub_co_u32 v30, s1, v25, s56
	v_add_nc_u64_e32 v[32:33], 1, v[28:29]
	v_subrev_co_ci_u32_e64 v3, null, 0, v3, s1
	s_delay_alu instid0(VALU_DEP_3) | instskip(SKIP_1) | instid1(VALU_DEP_3)
	v_cmp_le_u32_e32 vcc_lo, s56, v30
	v_cndmask_b32_e64 v30, 0, -1, vcc_lo
	v_cmp_le_u32_e32 vcc_lo, s57, v3
	v_cndmask_b32_e64 v31, 0, -1, vcc_lo
	;; [unrolled: 2-line block ×4, first 2 shown]
	v_cmp_eq_u32_e32 vcc_lo, s57, v3
	v_cndmask_b32_e32 v3, v31, v30, vcc_lo
	v_cmp_eq_u32_e32 vcc_lo, s57, v35
	v_add_nc_u64_e32 v[30:31], 2, v[28:29]
	v_cndmask_b32_e32 v25, v36, v25, vcc_lo
	s_delay_alu instid0(VALU_DEP_4) | instskip(NEXT) | instid1(VALU_DEP_3)
	v_cmp_ne_u32_e32 vcc_lo, 0, v3
	v_cndmask_b32_e32 v3, v33, v31, vcc_lo
	s_delay_alu instid0(VALU_DEP_3) | instskip(NEXT) | instid1(VALU_DEP_1)
	v_cmp_ne_u32_e64 s1, 0, v25
	v_dual_cndmask_b32 v25, v32, v30, vcc_lo :: v_dual_cndmask_b32 v3, v29, v3, s1
	s_delay_alu instid0(VALU_DEP_1) | instskip(NEXT) | instid1(VALU_DEP_2)
	v_cndmask_b32_e64 v28, v28, v25, s1
	v_dual_mov_b32 v25, v24 :: v_dual_bitop2_b32 v29, v3, v24 bitop3:0x14
	s_delay_alu instid0(VALU_DEP_2) | instskip(NEXT) | instid1(VALU_DEP_1)
	v_xor_b32_e32 v28, v28, v24
	v_sub_nc_u64_e32 v[24:25], v[28:29], v[24:25]
.LBB3_43:                               ;   in Loop: Header=BB3_40 Depth=2
	s_and_not1_saveexec_b32 s1, s60
	s_cbranch_execz .LBB3_45
; %bb.44:                               ;   in Loop: Header=BB3_40 Depth=2
	v_cvt_f32_u32_e32 v3, s24
	s_sub_co_i32 s2, 0, s24
	s_delay_alu instid0(VALU_DEP_1) | instskip(SKIP_1) | instid1(TRANS32_DEP_1)
	v_rcp_iflag_f32_e32 v3, v3
	v_nop
	v_mul_f32_e32 v3, 0x4f7ffffe, v3
	s_delay_alu instid0(VALU_DEP_1) | instskip(NEXT) | instid1(VALU_DEP_1)
	v_cvt_u32_f32_e32 v3, v3
	v_mul_lo_u32 v24, s2, v3
	s_delay_alu instid0(VALU_DEP_1) | instskip(NEXT) | instid1(VALU_DEP_1)
	v_mul_hi_u32 v24, v3, v24
	v_add_nc_u32_e32 v3, v3, v24
	s_delay_alu instid0(VALU_DEP_1) | instskip(NEXT) | instid1(VALU_DEP_1)
	v_mul_hi_u32 v3, v26, v3
	v_mul_lo_u32 v24, v3, s24
	s_delay_alu instid0(VALU_DEP_1) | instskip(NEXT) | instid1(VALU_DEP_1)
	v_sub_nc_u32_e32 v24, v26, v24
	v_subrev_nc_u32_e32 v28, s24, v24
	v_cmp_le_u32_e32 vcc_lo, s24, v24
	s_delay_alu instid0(VALU_DEP_2) | instskip(NEXT) | instid1(VALU_DEP_1)
	v_dual_cndmask_b32 v24, v24, v28 :: v_dual_add_nc_u32 v25, 1, v3
	v_cndmask_b32_e32 v3, v3, v25, vcc_lo
	s_delay_alu instid0(VALU_DEP_2) | instskip(NEXT) | instid1(VALU_DEP_2)
	v_cmp_le_u32_e32 vcc_lo, s24, v24
	v_add_nc_u32_e32 v25, 1, v3
	s_delay_alu instid0(VALU_DEP_1)
	v_dual_cndmask_b32 v24, v3, v25 :: v_dual_mov_b32 v25, v2
.LBB3_45:                               ;   in Loop: Header=BB3_40 Depth=2
	s_or_b32 exec_lo, exec_lo, s1
	s_delay_alu instid0(VALU_DEP_1) | instskip(SKIP_3) | instid1(VALU_DEP_2)
	v_mul_u64_e32 v[28:29], s[24:25], v[24:25]
	v_add_nc_u64_e32 v[24:25], v[24:25], v[10:11]
	v_mov_b64_e32 v[30:31], v[6:7]
	s_mov_b32 s60, 0
	v_mul_u64_e32 v[24:25], s[14:15], v[24:25]
	s_delay_alu instid0(VALU_DEP_4) | instskip(SKIP_1) | instid1(VALU_DEP_2)
	v_sub_nc_u64_e32 v[26:27], v[26:27], v[28:29]
	v_mov_b64_e32 v[28:29], v[22:23]
	v_cmp_eq_u64_e64 s1, 0, v[26:27]
	v_mov_b64_e32 v[26:27], v[12:13]
	s_branch .LBB3_48
.LBB3_46:                               ;   in Loop: Header=BB3_48 Depth=3
	s_wait_xcnt 0x0
	s_or_b32 exec_lo, exec_lo, s2
.LBB3_47:                               ;   in Loop: Header=BB3_48 Depth=3
	s_delay_alu instid0(SALU_CYCLE_1) | instskip(SKIP_3) | instid1(VALU_DEP_3)
	s_or_b32 exec_lo, exec_lo, s61
	v_add_nc_u64_e32 v[30:31], 1, v[30:31]
	v_add_nc_u64_e32 v[28:29], 8, v[28:29]
	v_sub_nc_u64_e64 v[26:27], v[26:27], s[22:23]
	v_cmp_ge_i64_e32 vcc_lo, v[30:31], v[20:21]
	s_or_b32 s60, vcc_lo, s60
	s_delay_alu instid0(SALU_CYCLE_1)
	s_and_not1_b32 exec_lo, exec_lo, s60
	s_cbranch_execz .LBB3_38
.LBB3_48:                               ;   Parent Loop BB3_4 Depth=1
                                        ;     Parent Loop BB3_40 Depth=2
                                        ; =>    This Inner Loop Header: Depth=3
	s_delay_alu instid0(VALU_DEP_2)
	s_and_saveexec_b32 s61, s1
	s_cbranch_execz .LBB3_47
; %bb.49:                               ;   in Loop: Header=BB3_48 Depth=3
	s_delay_alu instid0(VALU_DEP_1) | instskip(SKIP_1) | instid1(VALU_DEP_1)
	v_or_b32_e32 v3, s27, v27
                                        ; implicit-def: $vgpr32_vgpr33
	s_mov_b32 s2, exec_lo
	v_cmpx_ne_u64_e32 0, v[2:3]
	s_xor_b32 s62, exec_lo, s2
	s_cbranch_execz .LBB3_51
; %bb.50:                               ;   in Loop: Header=BB3_48 Depth=3
	s_ashr_i32 s54, s27, 31
	v_dual_mov_b32 v39, v2 :: v_dual_ashrrev_i32 v32, 31, v27
	s_mov_b32 s55, s54
	v_mov_b32_e32 v43, v2
	s_add_nc_u64 s[56:57], s[26:27], s[54:55]
	s_delay_alu instid0(VALU_DEP_2)
	v_mov_b32_e32 v33, v32
	s_xor_b64 s[56:57], s[56:57], s[54:55]
	v_mov_b32_e32 v47, v2
	s_cvt_f32_u32 s2, s56
	s_cvt_f32_u32 s55, s57
	s_sub_nc_u64 s[66:67], 0, s[56:57]
	v_add_nc_u64_e32 v[36:37], v[26:27], v[32:33]
	s_delay_alu instid0(SALU_CYCLE_1) | instskip(NEXT) | instid1(SALU_CYCLE_3)
	s_fmamk_f32 s2, s55, 0x4f800000, s2
	v_s_rcp_f32 s2, s2
	s_delay_alu instid0(VALU_DEP_1) | instskip(NEXT) | instid1(VALU_DEP_2)
	v_xor_b32_e32 v38, v36, v32
	v_xor_b32_e32 v42, v37, v32
	s_delay_alu instid0(TRANS32_DEP_1) | instskip(NEXT) | instid1(SALU_CYCLE_3)
	s_mul_f32 s2, s2, 0x5f7ffffc
	s_mul_f32 s55, s2, 0x2f800000
	s_delay_alu instid0(SALU_CYCLE_3) | instskip(NEXT) | instid1(SALU_CYCLE_3)
	s_trunc_f32 s55, s55
	s_fmamk_f32 s2, s55, 0xcf800000, s2
	s_cvt_u32_f32 s65, s55
	s_delay_alu instid0(SALU_CYCLE_2) | instskip(NEXT) | instid1(SALU_CYCLE_3)
	s_cvt_u32_f32 s64, s2
	s_mul_u64 s[68:69], s[66:67], s[64:65]
	s_delay_alu instid0(SALU_CYCLE_1)
	s_mul_hi_u32 s71, s64, s69
	s_mul_i32 s70, s64, s69
	s_mul_hi_u32 s2, s64, s68
	s_mul_i32 s63, s65, s68
	s_add_nc_u64 s[70:71], s[2:3], s[70:71]
	s_mul_hi_u32 s55, s65, s68
	s_mul_hi_u32 s72, s65, s69
	s_add_co_u32 s2, s70, s63
	s_add_co_ci_u32 s2, s71, s55
	s_mul_i32 s68, s65, s69
	s_add_co_ci_u32 s69, s72, 0
	s_delay_alu instid0(SALU_CYCLE_1) | instskip(NEXT) | instid1(SALU_CYCLE_1)
	s_add_nc_u64 s[68:69], s[2:3], s[68:69]
	s_add_co_u32 s64, s64, s68
	s_cselect_b32 s2, -1, 0
	s_delay_alu instid0(SALU_CYCLE_1) | instskip(SKIP_1) | instid1(SALU_CYCLE_1)
	s_cmp_lg_u32 s2, 0
	s_add_co_ci_u32 s65, s65, s69
	s_mul_u64 s[66:67], s[66:67], s[64:65]
	s_delay_alu instid0(SALU_CYCLE_1)
	s_mul_hi_u32 s69, s64, s67
	s_mul_i32 s68, s64, s67
	s_mul_hi_u32 s2, s64, s66
	s_mul_i32 s63, s65, s66
	s_add_nc_u64 s[68:69], s[2:3], s[68:69]
	s_mul_hi_u32 s55, s65, s66
	s_mul_hi_u32 s70, s65, s67
	s_add_co_u32 s2, s68, s63
	s_add_co_ci_u32 s2, s69, s55
	s_mul_i32 s66, s65, s67
	s_add_co_ci_u32 s67, s70, 0
	s_delay_alu instid0(SALU_CYCLE_1) | instskip(NEXT) | instid1(SALU_CYCLE_1)
	s_add_nc_u64 s[66:67], s[2:3], s[66:67]
	s_add_co_u32 s64, s64, s66
	s_cselect_b32 s2, -1, 0
	v_mul_hi_u32 v46, v38, s64
	s_cmp_lg_u32 s2, 0
	s_add_co_ci_u32 s2, s65, s67
	s_and_b64 s[66:67], s[64:65], s[34:35]
	v_mul_u64_e32 v[40:41], s[2:3], v[38:39]
	v_mul_u64_e32 v[36:37], s[66:67], v[42:43]
	;; [unrolled: 1-line block ×3, first 2 shown]
	s_delay_alu instid0(VALU_DEP_3) | instskip(NEXT) | instid1(VALU_DEP_1)
	v_add_nc_u64_e32 v[40:41], v[46:47], v[40:41]
	v_add_co_u32 v3, vcc_lo, v40, v36
	s_delay_alu instid0(VALU_DEP_2) | instskip(NEXT) | instid1(VALU_DEP_4)
	v_add_co_ci_u32_e32 v46, vcc_lo, v41, v37, vcc_lo
	v_add_co_ci_u32_e32 v45, vcc_lo, 0, v45, vcc_lo
	s_delay_alu instid0(VALU_DEP_1) | instskip(NEXT) | instid1(VALU_DEP_1)
	v_add_nc_u64_e32 v[36:37], v[46:47], v[44:45]
	v_mul_u64_e32 v[40:41], s[56:57], v[36:37]
	s_delay_alu instid0(VALU_DEP_1) | instskip(NEXT) | instid1(VALU_DEP_2)
	v_sub_nc_u32_e32 v3, v42, v41
	v_sub_co_u32 v33, vcc_lo, v38, v40
	s_delay_alu instid0(VALU_DEP_1) | instskip(NEXT) | instid1(VALU_DEP_3)
	v_sub_co_ci_u32_e64 v42, null, v42, v41, vcc_lo
	v_subrev_co_ci_u32_e64 v3, null, s57, v3, vcc_lo
	s_delay_alu instid0(VALU_DEP_3) | instskip(SKIP_1) | instid1(VALU_DEP_3)
	v_sub_co_u32 v35, s2, v33, s56
	v_add_nc_u64_e32 v[40:41], 1, v[36:37]
	v_subrev_co_ci_u32_e64 v3, null, 0, v3, s2
	s_delay_alu instid0(VALU_DEP_3) | instskip(SKIP_1) | instid1(VALU_DEP_3)
	v_cmp_le_u32_e32 vcc_lo, s56, v35
	v_cndmask_b32_e64 v35, 0, -1, vcc_lo
	v_cmp_le_u32_e32 vcc_lo, s57, v3
	v_cndmask_b32_e64 v38, 0, -1, vcc_lo
	;; [unrolled: 2-line block ×4, first 2 shown]
	v_cmp_eq_u32_e32 vcc_lo, s57, v3
	v_cndmask_b32_e32 v3, v38, v35, vcc_lo
	v_cmp_eq_u32_e32 vcc_lo, s57, v42
	v_add_nc_u64_e32 v[38:39], 2, v[36:37]
	v_cndmask_b32_e32 v33, v43, v33, vcc_lo
	s_delay_alu instid0(VALU_DEP_4) | instskip(NEXT) | instid1(VALU_DEP_3)
	v_cmp_ne_u32_e32 vcc_lo, 0, v3
	v_cndmask_b32_e32 v3, v41, v39, vcc_lo
	s_delay_alu instid0(VALU_DEP_3) | instskip(SKIP_1) | instid1(VALU_DEP_1)
	v_cmp_ne_u32_e64 s2, 0, v33
	v_dual_cndmask_b32 v33, v40, v38, vcc_lo :: v_dual_bitop2_b32 v32, s54, v32 bitop3:0x14
	v_dual_cndmask_b32 v3, v37, v3, s2 :: v_dual_cndmask_b32 v35, v36, v33, s2
	s_delay_alu instid0(VALU_DEP_1) | instskip(NEXT) | instid1(VALU_DEP_2)
	v_dual_mov_b32 v33, v32 :: v_dual_bitop2_b32 v37, v3, v32 bitop3:0x14
	v_xor_b32_e32 v36, v35, v32
	s_delay_alu instid0(VALU_DEP_1)
	v_sub_nc_u64_e32 v[32:33], v[36:37], v[32:33]
.LBB3_51:                               ;   in Loop: Header=BB3_48 Depth=3
	s_and_not1_saveexec_b32 s2, s62
	s_cbranch_execz .LBB3_53
; %bb.52:                               ;   in Loop: Header=BB3_48 Depth=3
	v_cvt_f32_u32_e32 v3, s26
	s_sub_co_i32 s54, 0, s26
	s_delay_alu instid0(VALU_DEP_1) | instskip(SKIP_1) | instid1(TRANS32_DEP_1)
	v_rcp_iflag_f32_e32 v3, v3
	v_nop
	v_mul_f32_e32 v3, 0x4f7ffffe, v3
	s_delay_alu instid0(VALU_DEP_1) | instskip(NEXT) | instid1(VALU_DEP_1)
	v_cvt_u32_f32_e32 v3, v3
	v_mul_lo_u32 v32, s54, v3
	s_delay_alu instid0(VALU_DEP_1) | instskip(NEXT) | instid1(VALU_DEP_1)
	v_mul_hi_u32 v32, v3, v32
	v_add_nc_u32_e32 v3, v3, v32
	s_delay_alu instid0(VALU_DEP_1) | instskip(NEXT) | instid1(VALU_DEP_1)
	v_mul_hi_u32 v3, v26, v3
	v_mul_lo_u32 v32, v3, s26
	s_delay_alu instid0(VALU_DEP_1) | instskip(NEXT) | instid1(VALU_DEP_1)
	v_dual_add_nc_u32 v33, 1, v3 :: v_dual_sub_nc_u32 v32, v26, v32
	v_subrev_nc_u32_e32 v35, s26, v32
	v_cmp_le_u32_e32 vcc_lo, s26, v32
	s_delay_alu instid0(VALU_DEP_2) | instskip(NEXT) | instid1(VALU_DEP_1)
	v_dual_cndmask_b32 v32, v32, v35 :: v_dual_cndmask_b32 v3, v3, v33
	v_cmp_le_u32_e32 vcc_lo, s26, v32
	s_delay_alu instid0(VALU_DEP_2) | instskip(NEXT) | instid1(VALU_DEP_1)
	v_add_nc_u32_e32 v33, 1, v3
	v_dual_cndmask_b32 v32, v3, v33 :: v_dual_mov_b32 v33, v2
.LBB3_53:                               ;   in Loop: Header=BB3_48 Depth=3
	s_or_b32 exec_lo, exec_lo, s2
	s_delay_alu instid0(VALU_DEP_1) | instskip(SKIP_1) | instid1(VALU_DEP_1)
	v_mul_u64_e32 v[36:37], s[26:27], v[32:33]
	s_mov_b32 s2, exec_lo
	v_sub_nc_u64_e32 v[36:37], v[26:27], v[36:37]
	s_delay_alu instid0(VALU_DEP_1)
	v_cmpx_eq_u64_e32 0, v[36:37]
	s_cbranch_execz .LBB3_46
; %bb.54:                               ;   in Loop: Header=BB3_48 Depth=3
	v_add_nc_u64_e32 v[32:33], v[24:25], v[32:33]
	s_delay_alu instid0(VALU_DEP_1) | instskip(NEXT) | instid1(VALU_DEP_1)
	v_mad_nc_u64_u32 v[36:37], v32, s36, v[14:15]
	v_mad_u32 v3, v33, s36, v37
	s_delay_alu instid0(VALU_DEP_2) | instskip(NEXT) | instid1(VALU_DEP_2)
	v_mad_nc_u64_u32 v[38:39], s48, v36, v[28:29]
	v_mad_u32 v3, v32, s37, v3
	s_delay_alu instid0(VALU_DEP_2) | instskip(NEXT) | instid1(VALU_DEP_1)
	v_mad_u32 v32, s49, v36, v39
	v_mad_u32 v39, s48, v3, v32
	global_load_b64 v[32:33], v[38:39], off
	s_wait_loadcnt 0x0
	v_add_f64_e32 v[18:19], v[18:19], v[32:33]
	s_branch .LBB3_46
.LBB3_55:
	s_endpgm
	.section	.rodata,"a",@progbits
	.p2align	6, 0x0
	.amdhsa_kernel _ZN2at6native13col2im_kernelIddEEvlPKT_llllllllllllPS2_
		.amdhsa_group_segment_fixed_size 0
		.amdhsa_private_segment_fixed_size 0
		.amdhsa_kernarg_size 376
		.amdhsa_user_sgpr_count 2
		.amdhsa_user_sgpr_dispatch_ptr 0
		.amdhsa_user_sgpr_queue_ptr 0
		.amdhsa_user_sgpr_kernarg_segment_ptr 1
		.amdhsa_user_sgpr_dispatch_id 0
		.amdhsa_user_sgpr_kernarg_preload_length 0
		.amdhsa_user_sgpr_kernarg_preload_offset 0
		.amdhsa_user_sgpr_private_segment_size 0
		.amdhsa_wavefront_size32 1
		.amdhsa_uses_dynamic_stack 0
		.amdhsa_enable_private_segment 0
		.amdhsa_system_sgpr_workgroup_id_x 1
		.amdhsa_system_sgpr_workgroup_id_y 0
		.amdhsa_system_sgpr_workgroup_id_z 0
		.amdhsa_system_sgpr_workgroup_info 0
		.amdhsa_system_vgpr_workitem_id 0
		.amdhsa_next_free_vgpr 48
		.amdhsa_next_free_sgpr 73
		.amdhsa_named_barrier_count 0
		.amdhsa_reserve_vcc 1
		.amdhsa_float_round_mode_32 0
		.amdhsa_float_round_mode_16_64 0
		.amdhsa_float_denorm_mode_32 3
		.amdhsa_float_denorm_mode_16_64 3
		.amdhsa_fp16_overflow 0
		.amdhsa_memory_ordered 1
		.amdhsa_forward_progress 1
		.amdhsa_inst_pref_size 58
		.amdhsa_round_robin_scheduling 0
		.amdhsa_exception_fp_ieee_invalid_op 0
		.amdhsa_exception_fp_denorm_src 0
		.amdhsa_exception_fp_ieee_div_zero 0
		.amdhsa_exception_fp_ieee_overflow 0
		.amdhsa_exception_fp_ieee_underflow 0
		.amdhsa_exception_fp_ieee_inexact 0
		.amdhsa_exception_int_div_zero 0
	.end_amdhsa_kernel
	.section	.text._ZN2at6native13col2im_kernelIddEEvlPKT_llllllllllllPS2_,"axG",@progbits,_ZN2at6native13col2im_kernelIddEEvlPKT_llllllllllllPS2_,comdat
.Lfunc_end3:
	.size	_ZN2at6native13col2im_kernelIddEEvlPKT_llllllllllllPS2_, .Lfunc_end3-_ZN2at6native13col2im_kernelIddEEvlPKT_llllllllllllPS2_
                                        ; -- End function
	.set _ZN2at6native13col2im_kernelIddEEvlPKT_llllllllllllPS2_.num_vgpr, 48
	.set _ZN2at6native13col2im_kernelIddEEvlPKT_llllllllllllPS2_.num_agpr, 0
	.set _ZN2at6native13col2im_kernelIddEEvlPKT_llllllllllllPS2_.numbered_sgpr, 73
	.set _ZN2at6native13col2im_kernelIddEEvlPKT_llllllllllllPS2_.num_named_barrier, 0
	.set _ZN2at6native13col2im_kernelIddEEvlPKT_llllllllllllPS2_.private_seg_size, 0
	.set _ZN2at6native13col2im_kernelIddEEvlPKT_llllllllllllPS2_.uses_vcc, 1
	.set _ZN2at6native13col2im_kernelIddEEvlPKT_llllllllllllPS2_.uses_flat_scratch, 0
	.set _ZN2at6native13col2im_kernelIddEEvlPKT_llllllllllllPS2_.has_dyn_sized_stack, 0
	.set _ZN2at6native13col2im_kernelIddEEvlPKT_llllllllllllPS2_.has_recursion, 0
	.set _ZN2at6native13col2im_kernelIddEEvlPKT_llllllllllllPS2_.has_indirect_call, 0
	.section	.AMDGPU.csdata,"",@progbits
; Kernel info:
; codeLenInByte = 7392
; TotalNumSgprs: 75
; NumVgprs: 48
; ScratchSize: 0
; MemoryBound: 0
; FloatMode: 240
; IeeeMode: 1
; LDSByteSize: 0 bytes/workgroup (compile time only)
; SGPRBlocks: 0
; VGPRBlocks: 2
; NumSGPRsForWavesPerEU: 75
; NumVGPRsForWavesPerEU: 48
; NamedBarCnt: 0
; Occupancy: 16
; WaveLimiterHint : 0
; COMPUTE_PGM_RSRC2:SCRATCH_EN: 0
; COMPUTE_PGM_RSRC2:USER_SGPR: 2
; COMPUTE_PGM_RSRC2:TRAP_HANDLER: 0
; COMPUTE_PGM_RSRC2:TGID_X_EN: 1
; COMPUTE_PGM_RSRC2:TGID_Y_EN: 0
; COMPUTE_PGM_RSRC2:TGID_Z_EN: 0
; COMPUTE_PGM_RSRC2:TIDIG_COMP_CNT: 0
	.section	.text._ZN2at6native14vol2col_kernelIfEEvlPKT_iiiiiiiiiiiiiiiiiiPS2_,"axG",@progbits,_ZN2at6native14vol2col_kernelIfEEvlPKT_iiiiiiiiiiiiiiiiiiPS2_,comdat
	.protected	_ZN2at6native14vol2col_kernelIfEEvlPKT_iiiiiiiiiiiiiiiiiiPS2_ ; -- Begin function _ZN2at6native14vol2col_kernelIfEEvlPKT_iiiiiiiiiiiiiiiiiiPS2_
	.globl	_ZN2at6native14vol2col_kernelIfEEvlPKT_iiiiiiiiiiiiiiiiiiPS2_
	.p2align	8
	.type	_ZN2at6native14vol2col_kernelIfEEvlPKT_iiiiiiiiiiiiiiiiiiPS2_,@function
_ZN2at6native14vol2col_kernelIfEEvlPKT_iiiiiiiiiiiiiiiiiiPS2_: ; @_ZN2at6native14vol2col_kernelIfEEvlPKT_iiiiiiiiiiiiiiiiiiPS2_
; %bb.0:
	s_clause 0x1
	s_load_b32 s2, s[0:1], 0x6c
	s_load_b128 s[20:23], s[0:1], 0x0
	s_bfe_u32 s3, ttmp6, 0x4000c
	v_mov_b32_e32 v2, 0
	s_add_co_i32 s3, s3, 1
	s_and_b32 s4, ttmp6, 15
	s_mul_i32 s3, ttmp9, s3
	s_getreg_b32 s5, hwreg(HW_REG_IB_STS2, 6, 4)
	v_mov_b32_e32 v1, v2
	s_add_co_i32 s4, s4, s3
	s_mov_b32 s29, 0
	s_wait_kmcnt 0x0
	s_and_b32 s2, s2, 0xffff
	s_cmp_eq_u32 s5, 0
	s_cselect_b32 s3, ttmp9, s4
	s_delay_alu instid0(SALU_CYCLE_1) | instskip(SKIP_1) | instid1(VALU_DEP_1)
	v_mad_nc_u64_u32 v[0:1], s2, s3, v[0:1]
	s_mov_b32 s3, exec_lo
	v_cmpx_gt_i64_e64 s[20:21], v[0:1]
	s_cbranch_execz .LBB4_26
; %bb.1:
	s_clause 0x1
	s_load_b512 s[4:19], s[0:1], 0x10
	s_load_b128 s[24:27], s[0:1], 0x50
	s_wait_xcnt 0x0
	s_add_nc_u64 s[0:1], s[0:1], 0x60
	v_mov_b64_e32 v[4:5], s[22:23]
	s_load_b32 s3, s[0:1], 0x0
	s_mov_b32 s56, 0
	s_wait_kmcnt 0x0
	s_ashr_i32 s1, s7, 31
	s_mov_b32 s30, s25
	s_mov_b32 s0, s7
	v_cvt_f32_u32_e32 v3, s30
	s_ashr_i32 s47, s8, 31
	s_mov_b32 s46, s8
	s_ashr_i32 s49, s9, 31
	s_mov_b32 s48, s9
	v_rcp_iflag_f32_e32 v3, v3
	s_mul_u64 s[0:1], s[46:47], s[0:1]
	s_ashr_i32 s31, s25, 31
	s_ashr_i32 s35, s24, 31
	;; [unrolled: 1-line block ×4, first 2 shown]
	s_mov_b32 s38, s13
	s_ashr_i32 s41, s10, 31
	s_mov_b32 s40, s10
	s_ashr_i32 s43, s14, 31
	;; [unrolled: 2-line block ×5, first 2 shown]
	s_mul_u64 s[14:15], s[0:1], s[48:49]
	s_ashr_i32 s47, s4, 31
	s_ashr_i32 s49, s5, 31
	;; [unrolled: 1-line block ×3, first 2 shown]
	s_cmp_gt_i32 s7, 0
	v_nop
	v_mul_f32_e32 v3, 0x4f7ffffe, v3
	s_mul_i32 s28, s24, s19
	s_mov_b32 s36, s19
	s_cselect_b32 s19, -1, 0
	s_cmp_gt_i32 s8, 0
	v_mov_b64_e32 v[6:7], s[26:27]
	s_cselect_b32 s33, -1, 0
	s_cmp_gt_i32 s9, 0
	s_mul_i32 s0, s28, s25
	v_cvt_u32_f32_e32 v14, v3
	s_cselect_b32 s54, -1, 0
	s_ashr_i32 s1, s0, 31
	s_mul_i32 s55, s16, s6
	s_mov_b32 s34, s24
	s_mov_b32 s46, s4
	;; [unrolled: 1-line block ×4, first 2 shown]
	s_mul_i32 s24, s3, s2
	s_mov_b32 s25, s29
	s_lshl_b64 s[52:53], s[0:1], 2
	s_mul_i32 s55, s55, s5
	s_mov_b64 s[4:5], 0xffffffff
	s_mul_i32 s6, s17, s6
	s_ashr_i32 s22, s31, 31
	s_branch .LBB4_3
.LBB4_2:                                ;   in Loop: Header=BB4_3 Depth=1
	v_add_nc_u64_e32 v[0:1], s[24:25], v[0:1]
	s_delay_alu instid0(VALU_DEP_1) | instskip(SKIP_1) | instid1(SALU_CYCLE_1)
	v_cmp_le_i64_e32 vcc_lo, s[20:21], v[0:1]
	s_or_b32 s56, vcc_lo, s56
	s_and_not1_b32 exec_lo, exec_lo, s56
	s_cbranch_execz .LBB4_26
.LBB4_3:                                ; =>This Loop Header: Depth=1
                                        ;     Child Loop BB4_18 Depth 2
                                        ;       Child Loop BB4_21 Depth 3
                                        ;         Child Loop BB4_24 Depth 4
	v_or_b32_e32 v3, s31, v1
                                        ; implicit-def: $vgpr8_vgpr9
	s_mov_b32 s0, exec_lo
	s_delay_alu instid0(VALU_DEP_1)
	v_cmpx_ne_u64_e32 0, v[2:3]
	s_xor_b32 s1, exec_lo, s0
	s_cbranch_execz .LBB4_5
; %bb.4:                                ;   in Loop: Header=BB4_3 Depth=1
	s_mov_b32 s23, s22
	v_dual_mov_b32 v13, v2 :: v_dual_ashrrev_i32 v8, 31, v1
	s_add_nc_u64 s[2:3], s[30:31], s[22:23]
	v_mov_b32_e32 v23, v2
	s_xor_b64 s[2:3], s[2:3], s[22:23]
	s_delay_alu instid0(VALU_DEP_2) | instskip(SKIP_3) | instid1(VALU_DEP_1)
	v_mov_b32_e32 v9, v8
	s_cvt_f32_u32 s0, s2
	s_cvt_f32_u32 s23, s3
	s_sub_nc_u64 s[58:59], 0, s[2:3]
	v_add_nc_u64_e32 v[10:11], v[0:1], v[8:9]
	s_delay_alu instid0(SALU_CYCLE_1) | instskip(SKIP_1) | instid1(SALU_CYCLE_2)
	s_fmamk_f32 s0, s23, 0x4f800000, s0
	v_mov_b32_e32 v19, v2
	v_s_rcp_f32 s0, s0
	s_delay_alu instid0(VALU_DEP_2) | instskip(NEXT) | instid1(VALU_DEP_3)
	v_xor_b32_e32 v12, v10, v8
	v_xor_b32_e32 v18, v11, v8
	;; [unrolled: 1-line block ×3, first 2 shown]
	s_delay_alu instid0(TRANS32_DEP_1) | instskip(NEXT) | instid1(SALU_CYCLE_3)
	s_mul_f32 s0, s0, 0x5f7ffffc
	s_mul_f32 s23, s0, 0x2f800000
	s_delay_alu instid0(SALU_CYCLE_3) | instskip(NEXT) | instid1(SALU_CYCLE_3)
	s_trunc_f32 s23, s23
	s_fmamk_f32 s0, s23, 0xcf800000, s0
	s_cvt_u32_f32 s27, s23
	s_delay_alu instid0(SALU_CYCLE_2) | instskip(NEXT) | instid1(SALU_CYCLE_3)
	s_cvt_u32_f32 s26, s0
	s_mul_u64 s[60:61], s[58:59], s[26:27]
	s_delay_alu instid0(SALU_CYCLE_1)
	s_mul_hi_u32 s63, s26, s61
	s_mul_i32 s62, s26, s61
	s_mul_hi_u32 s28, s26, s60
	s_mul_i32 s23, s27, s60
	s_add_nc_u64 s[62:63], s[28:29], s[62:63]
	s_mul_hi_u32 s0, s27, s60
	s_mul_hi_u32 s57, s27, s61
	s_add_co_u32 s23, s62, s23
	s_add_co_ci_u32 s28, s63, s0
	s_mul_i32 s60, s27, s61
	s_add_co_ci_u32 s61, s57, 0
	s_delay_alu instid0(SALU_CYCLE_1) | instskip(NEXT) | instid1(SALU_CYCLE_1)
	s_add_nc_u64 s[60:61], s[28:29], s[60:61]
	s_add_co_u32 s26, s26, s60
	s_cselect_b32 s0, -1, 0
	s_delay_alu instid0(SALU_CYCLE_1) | instskip(SKIP_1) | instid1(SALU_CYCLE_1)
	s_cmp_lg_u32 s0, 0
	s_add_co_ci_u32 s27, s27, s61
	s_mul_u64 s[58:59], s[58:59], s[26:27]
	s_delay_alu instid0(SALU_CYCLE_1)
	s_mul_hi_u32 s61, s26, s59
	s_mul_i32 s60, s26, s59
	s_mul_hi_u32 s28, s26, s58
	s_mul_i32 s23, s27, s58
	s_add_nc_u64 s[60:61], s[28:29], s[60:61]
	s_mul_hi_u32 s0, s27, s58
	s_mul_hi_u32 s57, s27, s59
	s_add_co_u32 s23, s60, s23
	s_add_co_ci_u32 s28, s61, s0
	s_mul_i32 s58, s27, s59
	s_add_co_ci_u32 s59, s57, 0
	s_delay_alu instid0(SALU_CYCLE_1) | instskip(NEXT) | instid1(SALU_CYCLE_1)
	s_add_nc_u64 s[58:59], s[28:29], s[58:59]
	s_add_co_u32 s0, s26, s58
	s_cselect_b32 s23, -1, 0
	v_mul_hi_u32 v22, v12, s0
	s_cmp_lg_u32 s23, 0
	s_add_co_ci_u32 s28, s27, s59
	s_and_b64 s[26:27], s[0:1], s[4:5]
	v_mul_u64_e32 v[16:17], s[28:29], v[12:13]
	v_mul_u64_e32 v[10:11], s[26:27], v[18:19]
	;; [unrolled: 1-line block ×3, first 2 shown]
	s_delay_alu instid0(VALU_DEP_3) | instskip(NEXT) | instid1(VALU_DEP_1)
	v_add_nc_u64_e32 v[16:17], v[22:23], v[16:17]
	v_add_co_u32 v3, vcc_lo, v16, v10
	s_delay_alu instid0(VALU_DEP_2) | instskip(NEXT) | instid1(VALU_DEP_4)
	v_add_co_ci_u32_e32 v22, vcc_lo, v17, v11, vcc_lo
	v_add_co_ci_u32_e32 v21, vcc_lo, 0, v21, vcc_lo
	s_delay_alu instid0(VALU_DEP_1) | instskip(NEXT) | instid1(VALU_DEP_1)
	v_add_nc_u64_e32 v[10:11], v[22:23], v[20:21]
	v_mul_u64_e32 v[16:17], s[2:3], v[10:11]
	s_delay_alu instid0(VALU_DEP_1) | instskip(NEXT) | instid1(VALU_DEP_2)
	v_sub_nc_u32_e32 v3, v18, v17
	v_sub_co_u32 v9, vcc_lo, v12, v16
	s_delay_alu instid0(VALU_DEP_1) | instskip(NEXT) | instid1(VALU_DEP_3)
	v_sub_co_ci_u32_e64 v15, null, v18, v17, vcc_lo
	v_subrev_co_ci_u32_e64 v3, null, s3, v3, vcc_lo
	s_delay_alu instid0(VALU_DEP_3) | instskip(SKIP_1) | instid1(VALU_DEP_3)
	v_sub_co_u32 v12, s0, v9, s2
	v_add_nc_u64_e32 v[16:17], 1, v[10:11]
	v_subrev_co_ci_u32_e64 v3, null, 0, v3, s0
	s_delay_alu instid0(VALU_DEP_3) | instskip(SKIP_1) | instid1(VALU_DEP_3)
	v_cmp_le_u32_e32 vcc_lo, s2, v12
	v_cndmask_b32_e64 v12, 0, -1, vcc_lo
	v_cmp_le_u32_e32 vcc_lo, s3, v3
	v_cndmask_b32_e64 v13, 0, -1, vcc_lo
	;; [unrolled: 2-line block ×4, first 2 shown]
	v_cmp_eq_u32_e32 vcc_lo, s3, v3
	v_cndmask_b32_e32 v3, v13, v12, vcc_lo
	v_cmp_eq_u32_e32 vcc_lo, s3, v15
	v_add_nc_u64_e32 v[12:13], 2, v[10:11]
	v_cndmask_b32_e32 v9, v18, v9, vcc_lo
	s_delay_alu instid0(VALU_DEP_4) | instskip(NEXT) | instid1(VALU_DEP_2)
	v_cmp_ne_u32_e32 vcc_lo, 0, v3
	v_cmp_ne_u32_e64 s0, 0, v9
	s_delay_alu instid0(VALU_DEP_4) | instskip(NEXT) | instid1(VALU_DEP_1)
	v_dual_cndmask_b32 v3, v17, v13, vcc_lo :: v_dual_cndmask_b32 v9, v16, v12, vcc_lo
	v_dual_cndmask_b32 v10, v10, v9, s0 :: v_dual_mov_b32 v9, v8
	s_delay_alu instid0(VALU_DEP_1) | instskip(NEXT) | instid1(VALU_DEP_1)
	v_dual_cndmask_b32 v3, v11, v3, s0 :: v_dual_bitop2_b32 v10, v10, v8 bitop3:0x14
	v_xor_b32_e32 v11, v3, v8
	s_delay_alu instid0(VALU_DEP_1)
	v_sub_nc_u64_e32 v[8:9], v[10:11], v[8:9]
.LBB4_5:                                ;   in Loop: Header=BB4_3 Depth=1
	s_and_not1_saveexec_b32 s0, s1
	s_cbranch_execz .LBB4_7
; %bb.6:                                ;   in Loop: Header=BB4_3 Depth=1
	s_sub_co_i32 s1, 0, s30
	s_delay_alu instid0(SALU_CYCLE_1) | instskip(NEXT) | instid1(VALU_DEP_1)
	v_mul_lo_u32 v3, s1, v14
	v_mul_hi_u32 v3, v14, v3
	s_delay_alu instid0(VALU_DEP_1) | instskip(NEXT) | instid1(VALU_DEP_1)
	v_add_nc_u32_e32 v3, v14, v3
	v_mul_hi_u32 v3, v0, v3
	s_delay_alu instid0(VALU_DEP_1) | instskip(NEXT) | instid1(VALU_DEP_1)
	v_mul_lo_u32 v8, v3, s30
	v_sub_nc_u32_e32 v8, v0, v8
	s_delay_alu instid0(VALU_DEP_1) | instskip(SKIP_1) | instid1(VALU_DEP_2)
	v_subrev_nc_u32_e32 v10, s30, v8
	v_cmp_le_u32_e32 vcc_lo, s30, v8
	v_dual_cndmask_b32 v8, v8, v10 :: v_dual_add_nc_u32 v9, 1, v3
	s_delay_alu instid0(VALU_DEP_1) | instskip(NEXT) | instid1(VALU_DEP_2)
	v_cndmask_b32_e32 v3, v3, v9, vcc_lo
	v_cmp_le_u32_e32 vcc_lo, s30, v8
	s_delay_alu instid0(VALU_DEP_2) | instskip(NEXT) | instid1(VALU_DEP_1)
	v_add_nc_u32_e32 v9, 1, v3
	v_dual_cndmask_b32 v8, v3, v9 :: v_dual_mov_b32 v9, v2
.LBB4_7:                                ;   in Loop: Header=BB4_3 Depth=1
	s_or_b32 exec_lo, exec_lo, s0
	s_delay_alu instid0(VALU_DEP_1) | instskip(SKIP_1) | instid1(VALU_DEP_1)
	v_or_b32_e32 v3, s35, v9
                                        ; implicit-def: $vgpr10_vgpr11
	s_mov_b32 s0, exec_lo
	v_cmpx_ne_u64_e32 0, v[2:3]
	s_xor_b32 s1, exec_lo, s0
	s_cbranch_execz .LBB4_9
; %bb.8:                                ;   in Loop: Header=BB4_3 Depth=1
	s_ashr_i32 s2, s35, 31
	v_dual_mov_b32 v17, v2 :: v_dual_ashrrev_i32 v10, 31, v9
	s_mov_b32 s3, s2
	s_delay_alu instid0(SALU_CYCLE_1) | instskip(NEXT) | instid1(VALU_DEP_1)
	s_add_nc_u64 s[26:27], s[34:35], s[2:3]
	v_mov_b32_e32 v11, v10
	s_xor_b64 s[26:27], s[26:27], s[2:3]
	s_delay_alu instid0(SALU_CYCLE_1)
	s_cvt_f32_u32 s0, s26
	s_cvt_f32_u32 s3, s27
	s_sub_nc_u64 s[60:61], 0, s[26:27]
	v_add_nc_u64_e32 v[12:13], v[8:9], v[10:11]
	v_mov_b32_e32 v21, v2
	s_fmamk_f32 s0, s3, 0x4f800000, s0
	s_delay_alu instid0(SALU_CYCLE_3) | instskip(NEXT) | instid1(VALU_DEP_2)
	v_s_rcp_f32 s0, s0
	v_xor_b32_e32 v16, v12, v10
	s_delay_alu instid0(VALU_DEP_3) | instskip(NEXT) | instid1(TRANS32_DEP_1)
	v_dual_mov_b32 v25, v2 :: v_dual_bitop2_b32 v20, v13, v10 bitop3:0x14
	s_mul_f32 s0, s0, 0x5f7ffffc
	s_delay_alu instid0(SALU_CYCLE_3) | instskip(NEXT) | instid1(SALU_CYCLE_3)
	s_mul_f32 s3, s0, 0x2f800000
	s_trunc_f32 s3, s3
	s_delay_alu instid0(SALU_CYCLE_3) | instskip(SKIP_1) | instid1(SALU_CYCLE_2)
	s_fmamk_f32 s0, s3, 0xcf800000, s0
	s_cvt_u32_f32 s59, s3
	s_cvt_u32_f32 s58, s0
	s_delay_alu instid0(SALU_CYCLE_3) | instskip(NEXT) | instid1(SALU_CYCLE_1)
	s_mul_u64 s[62:63], s[60:61], s[58:59]
	s_mul_hi_u32 s65, s58, s63
	s_mul_i32 s64, s58, s63
	s_mul_hi_u32 s28, s58, s62
	s_mul_i32 s3, s59, s62
	s_add_nc_u64 s[64:65], s[28:29], s[64:65]
	s_mul_hi_u32 s0, s59, s62
	s_mul_hi_u32 s23, s59, s63
	s_add_co_u32 s3, s64, s3
	s_add_co_ci_u32 s28, s65, s0
	s_mul_i32 s62, s59, s63
	s_add_co_ci_u32 s63, s23, 0
	s_delay_alu instid0(SALU_CYCLE_1) | instskip(NEXT) | instid1(SALU_CYCLE_1)
	s_add_nc_u64 s[62:63], s[28:29], s[62:63]
	s_add_co_u32 s58, s58, s62
	s_cselect_b32 s0, -1, 0
	s_delay_alu instid0(SALU_CYCLE_1) | instskip(SKIP_1) | instid1(SALU_CYCLE_1)
	s_cmp_lg_u32 s0, 0
	s_add_co_ci_u32 s59, s59, s63
	s_mul_u64 s[60:61], s[60:61], s[58:59]
	s_delay_alu instid0(SALU_CYCLE_1)
	s_mul_hi_u32 s63, s58, s61
	s_mul_i32 s62, s58, s61
	s_mul_hi_u32 s28, s58, s60
	s_mul_i32 s3, s59, s60
	s_add_nc_u64 s[62:63], s[28:29], s[62:63]
	s_mul_hi_u32 s0, s59, s60
	s_mul_hi_u32 s23, s59, s61
	s_add_co_u32 s3, s62, s3
	s_add_co_ci_u32 s28, s63, s0
	s_mul_i32 s60, s59, s61
	s_add_co_ci_u32 s61, s23, 0
	s_delay_alu instid0(SALU_CYCLE_1) | instskip(NEXT) | instid1(SALU_CYCLE_1)
	s_add_nc_u64 s[60:61], s[28:29], s[60:61]
	s_add_co_u32 s0, s58, s60
	s_cselect_b32 s3, -1, 0
	v_mul_hi_u32 v24, v16, s0
	s_cmp_lg_u32 s3, 0
	s_add_co_ci_u32 s28, s59, s61
	s_and_b64 s[58:59], s[0:1], s[4:5]
	v_mul_u64_e32 v[18:19], s[28:29], v[16:17]
	v_mul_u64_e32 v[12:13], s[58:59], v[20:21]
	;; [unrolled: 1-line block ×3, first 2 shown]
	s_delay_alu instid0(VALU_DEP_3) | instskip(NEXT) | instid1(VALU_DEP_1)
	v_add_nc_u64_e32 v[18:19], v[24:25], v[18:19]
	v_add_co_u32 v3, vcc_lo, v18, v12
	s_delay_alu instid0(VALU_DEP_2) | instskip(NEXT) | instid1(VALU_DEP_4)
	v_add_co_ci_u32_e32 v24, vcc_lo, v19, v13, vcc_lo
	v_add_co_ci_u32_e32 v23, vcc_lo, 0, v23, vcc_lo
	s_delay_alu instid0(VALU_DEP_1) | instskip(NEXT) | instid1(VALU_DEP_1)
	v_add_nc_u64_e32 v[12:13], v[24:25], v[22:23]
	v_mul_u64_e32 v[18:19], s[26:27], v[12:13]
	s_delay_alu instid0(VALU_DEP_1) | instskip(NEXT) | instid1(VALU_DEP_2)
	v_sub_nc_u32_e32 v3, v20, v19
	v_sub_co_u32 v11, vcc_lo, v16, v18
	s_delay_alu instid0(VALU_DEP_1) | instskip(NEXT) | instid1(VALU_DEP_3)
	v_sub_co_ci_u32_e64 v20, null, v20, v19, vcc_lo
	v_subrev_co_ci_u32_e64 v3, null, s27, v3, vcc_lo
	s_delay_alu instid0(VALU_DEP_3) | instskip(SKIP_1) | instid1(VALU_DEP_3)
	v_sub_co_u32 v15, s0, v11, s26
	v_add_nc_u64_e32 v[18:19], 1, v[12:13]
	v_subrev_co_ci_u32_e64 v3, null, 0, v3, s0
	s_delay_alu instid0(VALU_DEP_3) | instskip(SKIP_1) | instid1(VALU_DEP_3)
	v_cmp_le_u32_e32 vcc_lo, s26, v15
	v_cndmask_b32_e64 v15, 0, -1, vcc_lo
	v_cmp_le_u32_e32 vcc_lo, s27, v3
	v_cndmask_b32_e64 v16, 0, -1, vcc_lo
	;; [unrolled: 2-line block ×4, first 2 shown]
	v_cmp_eq_u32_e32 vcc_lo, s27, v3
	v_cndmask_b32_e32 v3, v16, v15, vcc_lo
	v_cmp_eq_u32_e32 vcc_lo, s27, v20
	v_add_nc_u64_e32 v[16:17], 2, v[12:13]
	v_cndmask_b32_e32 v11, v21, v11, vcc_lo
	s_delay_alu instid0(VALU_DEP_4) | instskip(NEXT) | instid1(VALU_DEP_3)
	v_cmp_ne_u32_e32 vcc_lo, 0, v3
	v_cndmask_b32_e32 v3, v19, v17, vcc_lo
	s_delay_alu instid0(VALU_DEP_3) | instskip(SKIP_1) | instid1(VALU_DEP_2)
	v_cmp_ne_u32_e64 s0, 0, v11
	v_dual_cndmask_b32 v11, v18, v16, vcc_lo :: v_dual_bitop2_b32 v10, s2, v10 bitop3:0x14
	v_cndmask_b32_e64 v3, v13, v3, s0
	s_delay_alu instid0(VALU_DEP_2) | instskip(NEXT) | instid1(VALU_DEP_2)
	v_dual_cndmask_b32 v12, v12, v11, s0 :: v_dual_mov_b32 v11, v10
	v_xor_b32_e32 v13, v3, v10
	s_delay_alu instid0(VALU_DEP_2) | instskip(NEXT) | instid1(VALU_DEP_1)
	v_xor_b32_e32 v12, v12, v10
	v_sub_nc_u64_e32 v[10:11], v[12:13], v[10:11]
.LBB4_9:                                ;   in Loop: Header=BB4_3 Depth=1
	s_and_not1_saveexec_b32 s0, s1
	s_cbranch_execz .LBB4_11
; %bb.10:                               ;   in Loop: Header=BB4_3 Depth=1
	v_cvt_f32_u32_e32 v3, s34
	s_sub_co_i32 s1, 0, s34
	s_delay_alu instid0(VALU_DEP_1) | instskip(SKIP_1) | instid1(TRANS32_DEP_1)
	v_rcp_iflag_f32_e32 v3, v3
	v_nop
	v_mul_f32_e32 v3, 0x4f7ffffe, v3
	s_delay_alu instid0(VALU_DEP_1) | instskip(NEXT) | instid1(VALU_DEP_1)
	v_cvt_u32_f32_e32 v3, v3
	v_mul_lo_u32 v10, s1, v3
	s_delay_alu instid0(VALU_DEP_1) | instskip(NEXT) | instid1(VALU_DEP_1)
	v_mul_hi_u32 v10, v3, v10
	v_add_nc_u32_e32 v3, v3, v10
	s_delay_alu instid0(VALU_DEP_1) | instskip(NEXT) | instid1(VALU_DEP_1)
	v_mul_hi_u32 v3, v8, v3
	v_mul_lo_u32 v10, v3, s34
	s_delay_alu instid0(VALU_DEP_1) | instskip(NEXT) | instid1(VALU_DEP_1)
	v_dual_add_nc_u32 v11, 1, v3 :: v_dual_sub_nc_u32 v10, v8, v10
	v_subrev_nc_u32_e32 v12, s34, v10
	v_cmp_le_u32_e32 vcc_lo, s34, v10
	s_delay_alu instid0(VALU_DEP_2) | instskip(NEXT) | instid1(VALU_DEP_1)
	v_dual_cndmask_b32 v10, v10, v12 :: v_dual_cndmask_b32 v3, v3, v11
	v_cmp_le_u32_e32 vcc_lo, s34, v10
	s_delay_alu instid0(VALU_DEP_2) | instskip(NEXT) | instid1(VALU_DEP_1)
	v_add_nc_u32_e32 v11, 1, v3
	v_dual_cndmask_b32 v10, v3, v11 :: v_dual_mov_b32 v11, v2
.LBB4_11:                               ;   in Loop: Header=BB4_3 Depth=1
	s_or_b32 exec_lo, exec_lo, s0
	s_delay_alu instid0(VALU_DEP_1) | instskip(SKIP_1) | instid1(VALU_DEP_1)
	v_or_b32_e32 v3, s37, v11
                                        ; implicit-def: $vgpr12_vgpr13
	s_mov_b32 s0, exec_lo
	v_cmpx_ne_u64_e32 0, v[2:3]
	s_xor_b32 s1, exec_lo, s0
	s_cbranch_execz .LBB4_13
; %bb.12:                               ;   in Loop: Header=BB4_3 Depth=1
	s_ashr_i32 s2, s37, 31
	v_dual_mov_b32 v19, v2 :: v_dual_ashrrev_i32 v12, 31, v11
	s_mov_b32 s3, s2
	v_mov_b32_e32 v23, v2
	s_add_nc_u64 s[26:27], s[36:37], s[2:3]
	s_delay_alu instid0(VALU_DEP_2)
	v_mov_b32_e32 v13, v12
	s_xor_b64 s[26:27], s[26:27], s[2:3]
	v_mov_b32_e32 v27, v2
	s_cvt_f32_u32 s0, s26
	s_cvt_f32_u32 s3, s27
	s_sub_nc_u64 s[60:61], 0, s[26:27]
	v_add_nc_u64_e32 v[16:17], v[10:11], v[12:13]
	s_delay_alu instid0(SALU_CYCLE_1) | instskip(NEXT) | instid1(SALU_CYCLE_3)
	s_fmamk_f32 s0, s3, 0x4f800000, s0
	v_s_rcp_f32 s0, s0
	s_delay_alu instid0(VALU_DEP_1) | instskip(NEXT) | instid1(VALU_DEP_2)
	v_xor_b32_e32 v18, v16, v12
	v_xor_b32_e32 v22, v17, v12
	s_delay_alu instid0(TRANS32_DEP_1) | instskip(NEXT) | instid1(SALU_CYCLE_3)
	s_mul_f32 s0, s0, 0x5f7ffffc
	s_mul_f32 s3, s0, 0x2f800000
	s_delay_alu instid0(SALU_CYCLE_3) | instskip(NEXT) | instid1(SALU_CYCLE_3)
	s_trunc_f32 s3, s3
	s_fmamk_f32 s0, s3, 0xcf800000, s0
	s_cvt_u32_f32 s59, s3
	s_delay_alu instid0(SALU_CYCLE_2) | instskip(NEXT) | instid1(SALU_CYCLE_3)
	s_cvt_u32_f32 s58, s0
	s_mul_u64 s[62:63], s[60:61], s[58:59]
	s_delay_alu instid0(SALU_CYCLE_1)
	s_mul_hi_u32 s65, s58, s63
	s_mul_i32 s64, s58, s63
	s_mul_hi_u32 s28, s58, s62
	s_mul_i32 s3, s59, s62
	s_add_nc_u64 s[64:65], s[28:29], s[64:65]
	s_mul_hi_u32 s0, s59, s62
	s_mul_hi_u32 s23, s59, s63
	s_add_co_u32 s3, s64, s3
	s_add_co_ci_u32 s28, s65, s0
	s_mul_i32 s62, s59, s63
	s_add_co_ci_u32 s63, s23, 0
	s_delay_alu instid0(SALU_CYCLE_1) | instskip(NEXT) | instid1(SALU_CYCLE_1)
	s_add_nc_u64 s[62:63], s[28:29], s[62:63]
	s_add_co_u32 s58, s58, s62
	s_cselect_b32 s0, -1, 0
	s_delay_alu instid0(SALU_CYCLE_1) | instskip(SKIP_1) | instid1(SALU_CYCLE_1)
	s_cmp_lg_u32 s0, 0
	s_add_co_ci_u32 s59, s59, s63
	s_mul_u64 s[60:61], s[60:61], s[58:59]
	s_delay_alu instid0(SALU_CYCLE_1)
	s_mul_hi_u32 s63, s58, s61
	s_mul_i32 s62, s58, s61
	s_mul_hi_u32 s28, s58, s60
	s_mul_i32 s3, s59, s60
	s_add_nc_u64 s[62:63], s[28:29], s[62:63]
	s_mul_hi_u32 s0, s59, s60
	s_mul_hi_u32 s23, s59, s61
	s_add_co_u32 s3, s62, s3
	s_add_co_ci_u32 s28, s63, s0
	s_mul_i32 s60, s59, s61
	s_add_co_ci_u32 s61, s23, 0
	s_delay_alu instid0(SALU_CYCLE_1) | instskip(NEXT) | instid1(SALU_CYCLE_1)
	s_add_nc_u64 s[60:61], s[28:29], s[60:61]
	s_add_co_u32 s0, s58, s60
	s_cselect_b32 s3, -1, 0
	v_mul_hi_u32 v26, v18, s0
	s_cmp_lg_u32 s3, 0
	s_add_co_ci_u32 s28, s59, s61
	s_and_b64 s[58:59], s[0:1], s[4:5]
	v_mul_u64_e32 v[20:21], s[28:29], v[18:19]
	v_mul_u64_e32 v[16:17], s[58:59], v[22:23]
	;; [unrolled: 1-line block ×3, first 2 shown]
	s_delay_alu instid0(VALU_DEP_3) | instskip(NEXT) | instid1(VALU_DEP_1)
	v_add_nc_u64_e32 v[20:21], v[26:27], v[20:21]
	v_add_co_u32 v3, vcc_lo, v20, v16
	s_delay_alu instid0(VALU_DEP_2) | instskip(NEXT) | instid1(VALU_DEP_4)
	v_add_co_ci_u32_e32 v26, vcc_lo, v21, v17, vcc_lo
	v_add_co_ci_u32_e32 v25, vcc_lo, 0, v25, vcc_lo
	s_delay_alu instid0(VALU_DEP_1) | instskip(NEXT) | instid1(VALU_DEP_1)
	v_add_nc_u64_e32 v[16:17], v[26:27], v[24:25]
	v_mul_u64_e32 v[20:21], s[26:27], v[16:17]
	s_delay_alu instid0(VALU_DEP_1) | instskip(NEXT) | instid1(VALU_DEP_2)
	v_sub_nc_u32_e32 v3, v22, v21
	v_sub_co_u32 v13, vcc_lo, v18, v20
	s_delay_alu instid0(VALU_DEP_1) | instskip(NEXT) | instid1(VALU_DEP_3)
	v_sub_co_ci_u32_e64 v22, null, v22, v21, vcc_lo
	v_subrev_co_ci_u32_e64 v3, null, s27, v3, vcc_lo
	s_delay_alu instid0(VALU_DEP_3) | instskip(SKIP_1) | instid1(VALU_DEP_3)
	v_sub_co_u32 v15, s0, v13, s26
	v_add_nc_u64_e32 v[20:21], 1, v[16:17]
	v_subrev_co_ci_u32_e64 v3, null, 0, v3, s0
	s_delay_alu instid0(VALU_DEP_3) | instskip(SKIP_1) | instid1(VALU_DEP_3)
	v_cmp_le_u32_e32 vcc_lo, s26, v15
	v_cndmask_b32_e64 v15, 0, -1, vcc_lo
	v_cmp_le_u32_e32 vcc_lo, s27, v3
	v_cndmask_b32_e64 v18, 0, -1, vcc_lo
	;; [unrolled: 2-line block ×4, first 2 shown]
	v_cmp_eq_u32_e32 vcc_lo, s27, v3
	v_cndmask_b32_e32 v3, v18, v15, vcc_lo
	v_cmp_eq_u32_e32 vcc_lo, s27, v22
	v_add_nc_u64_e32 v[18:19], 2, v[16:17]
	v_cndmask_b32_e32 v13, v23, v13, vcc_lo
	s_delay_alu instid0(VALU_DEP_4) | instskip(NEXT) | instid1(VALU_DEP_3)
	v_cmp_ne_u32_e32 vcc_lo, 0, v3
	v_cndmask_b32_e32 v3, v21, v19, vcc_lo
	s_delay_alu instid0(VALU_DEP_3) | instskip(SKIP_1) | instid1(VALU_DEP_1)
	v_cmp_ne_u32_e64 s0, 0, v13
	v_dual_cndmask_b32 v13, v20, v18, vcc_lo :: v_dual_bitop2_b32 v12, s2, v12 bitop3:0x14
	v_dual_cndmask_b32 v3, v17, v3, s0 :: v_dual_cndmask_b32 v15, v16, v13, s0
	s_delay_alu instid0(VALU_DEP_1) | instskip(NEXT) | instid1(VALU_DEP_2)
	v_dual_mov_b32 v13, v12 :: v_dual_bitop2_b32 v17, v3, v12 bitop3:0x14
	v_xor_b32_e32 v16, v15, v12
	s_delay_alu instid0(VALU_DEP_1)
	v_sub_nc_u64_e32 v[12:13], v[16:17], v[12:13]
.LBB4_13:                               ;   in Loop: Header=BB4_3 Depth=1
	s_and_not1_saveexec_b32 s0, s1
	s_cbranch_execz .LBB4_15
; %bb.14:                               ;   in Loop: Header=BB4_3 Depth=1
	v_cvt_f32_u32_e32 v3, s36
	s_sub_co_i32 s1, 0, s36
	s_delay_alu instid0(VALU_DEP_1) | instskip(SKIP_1) | instid1(TRANS32_DEP_1)
	v_rcp_iflag_f32_e32 v3, v3
	v_nop
	v_mul_f32_e32 v3, 0x4f7ffffe, v3
	s_delay_alu instid0(VALU_DEP_1) | instskip(NEXT) | instid1(VALU_DEP_1)
	v_cvt_u32_f32_e32 v3, v3
	v_mul_lo_u32 v12, s1, v3
	s_delay_alu instid0(VALU_DEP_1) | instskip(NEXT) | instid1(VALU_DEP_1)
	v_mul_hi_u32 v12, v3, v12
	v_add_nc_u32_e32 v3, v3, v12
	s_delay_alu instid0(VALU_DEP_1) | instskip(NEXT) | instid1(VALU_DEP_1)
	v_mul_hi_u32 v3, v10, v3
	v_mul_lo_u32 v12, v3, s36
	s_delay_alu instid0(VALU_DEP_1) | instskip(NEXT) | instid1(VALU_DEP_1)
	v_dual_add_nc_u32 v13, 1, v3 :: v_dual_sub_nc_u32 v12, v10, v12
	v_subrev_nc_u32_e32 v15, s36, v12
	v_cmp_le_u32_e32 vcc_lo, s36, v12
	s_delay_alu instid0(VALU_DEP_2) | instskip(NEXT) | instid1(VALU_DEP_1)
	v_dual_cndmask_b32 v12, v12, v15 :: v_dual_cndmask_b32 v3, v3, v13
	v_cmp_le_u32_e32 vcc_lo, s36, v12
	s_delay_alu instid0(VALU_DEP_2) | instskip(NEXT) | instid1(VALU_DEP_1)
	v_add_nc_u32_e32 v13, 1, v3
	v_dual_cndmask_b32 v12, v3, v13 :: v_dual_mov_b32 v13, v2
.LBB4_15:                               ;   in Loop: Header=BB4_3 Depth=1
	s_or_b32 exec_lo, exec_lo, s0
	s_delay_alu instid0(VALU_DEP_1) | instskip(SKIP_3) | instid1(VALU_DEP_3)
	v_mul_u64_e32 v[16:17], s[36:37], v[12:13]
	v_mul_u64_e32 v[18:19], s[34:35], v[10:11]
	;; [unrolled: 1-line block ×3, first 2 shown]
	s_and_not1_b32 vcc_lo, exec_lo, s19
	v_sub_nc_u64_e32 v[20:21], v[10:11], v[16:17]
	s_delay_alu instid0(VALU_DEP_3) | instskip(NEXT) | instid1(VALU_DEP_2)
	v_sub_nc_u64_e32 v[18:19], v[8:9], v[18:19]
	v_mul_u64_e32 v[10:11], s[38:39], v[20:21]
	s_delay_alu instid0(VALU_DEP_2) | instskip(SKIP_1) | instid1(VALU_DEP_1)
	v_mul_u64_e32 v[22:23], s[42:43], v[18:19]
	v_mad_nc_u64_u32 v[20:21], v16, s14, v[20:21]
	v_mad_u32 v3, v17, s14, v21
	s_delay_alu instid0(VALU_DEP_2) | instskip(NEXT) | instid1(VALU_DEP_2)
	v_mad_nc_u64_u32 v[18:19], v20, s34, v[18:19]
	v_mad_u32 v3, v16, s15, v3
	v_sub_nc_u64_e32 v[16:17], v[0:1], v[26:27]
	v_sub_nc_u64_e64 v[10:11], v[10:11], s[40:41]
	v_sub_nc_u64_e64 v[8:9], v[22:23], s[44:45]
	s_delay_alu instid0(VALU_DEP_4) | instskip(NEXT) | instid1(VALU_DEP_3)
	v_mad_u32 v3, v3, s34, v19
	v_mad_nc_u64_u32 v[24:25], v12, s46, v[10:11]
	s_delay_alu instid0(VALU_DEP_2) | instskip(SKIP_1) | instid1(VALU_DEP_3)
	v_mad_u32 v19, v20, s35, v3
	v_mul_u64_e32 v[20:21], s[10:11], v[16:17]
	v_mad_u32 v13, v13, s46, v25
	s_delay_alu instid0(VALU_DEP_3) | instskip(NEXT) | instid1(VALU_DEP_2)
	v_mul_u64_e32 v[18:19], s[30:31], v[18:19]
	v_mad_u32 v15, v12, s47, v13
	v_mad_nc_u64_u32 v[12:13], v24, s48, v[8:9]
	s_delay_alu instid0(VALU_DEP_1) | instskip(NEXT) | instid1(VALU_DEP_1)
	v_mad_u32 v13, v15, s48, v13
	v_mad_u32 v13, v24, s49, v13
	v_lshl_add_u64 v[6:7], v[18:19], 2, v[6:7]
	s_delay_alu instid0(VALU_DEP_1) | instskip(NEXT) | instid1(VALU_DEP_3)
	v_lshl_add_u64 v[6:7], v[16:17], 2, v[6:7]
	v_mul_u64_e32 v[22:23], s[50:51], v[12:13]
	v_sub_nc_u64_e64 v[12:13], v[20:21], s[12:13]
	s_delay_alu instid0(VALU_DEP_2) | instskip(NEXT) | instid1(VALU_DEP_1)
	v_lshl_add_u64 v[4:5], v[22:23], 2, v[4:5]
	v_lshl_add_u64 v[4:5], v[12:13], 2, v[4:5]
	s_cbranch_vccnz .LBB4_2
; %bb.16:                               ;   in Loop: Header=BB4_3 Depth=1
	s_mov_b32 s23, 0
	s_mov_b32 s28, 0
	s_branch .LBB4_18
.LBB4_17:                               ;   in Loop: Header=BB4_18 Depth=2
	s_add_co_i32 s28, s28, 1
	s_add_co_i32 s23, s23, s55
	s_cmp_eq_u32 s28, s7
	s_cbranch_scc1 .LBB4_2
.LBB4_18:                               ;   Parent Loop BB4_3 Depth=1
                                        ; =>  This Loop Header: Depth=2
                                        ;       Child Loop BB4_21 Depth 3
                                        ;         Child Loop BB4_24 Depth 4
	s_and_not1_b32 vcc_lo, exec_lo, s33
	s_cbranch_vccnz .LBB4_17
; %bb.19:                               ;   in Loop: Header=BB4_18 Depth=2
	s_mul_i32 s0, s28, s16
	s_mov_b32 s57, 0
	s_ashr_i32 s1, s0, 31
	s_mov_b32 s58, s23
	v_add_nc_u64_e32 v[16:17], s[0:1], v[10:11]
	s_delay_alu instid0(VALU_DEP_1)
	v_cmp_lt_i64_e64 s0, -1, v[16:17]
	v_cmp_gt_i64_e64 s1, s[46:47], v[16:17]
	s_branch .LBB4_21
.LBB4_20:                               ;   in Loop: Header=BB4_21 Depth=3
	s_add_co_i32 s57, s57, 1
	s_add_co_i32 s58, s58, s6
	s_cmp_eq_u32 s57, s8
	s_cbranch_scc1 .LBB4_17
.LBB4_21:                               ;   Parent Loop BB4_3 Depth=1
                                        ;     Parent Loop BB4_18 Depth=2
                                        ; =>    This Loop Header: Depth=3
                                        ;         Child Loop BB4_24 Depth 4
	s_and_not1_b32 vcc_lo, exec_lo, s54
	s_cbranch_vccnz .LBB4_20
; %bb.22:                               ;   in Loop: Header=BB4_21 Depth=3
	s_mul_i32 s2, s57, s17
	s_mov_b32 s26, 0
	s_ashr_i32 s3, s2, 31
	s_mov_b32 s60, s9
	v_add_nc_u64_e32 v[16:17], s[2:3], v[8:9]
	s_delay_alu instid0(VALU_DEP_1)
	v_cmp_lt_i64_e64 s2, -1, v[16:17]
	v_cmp_gt_i64_e32 vcc_lo, s[48:49], v[16:17]
	s_and_b32 s59, s0, s2
	s_branch .LBB4_24
.LBB4_23:                               ;   in Loop: Header=BB4_24 Depth=4
	s_wait_xcnt 0x0
	s_or_b32 exec_lo, exec_lo, s2
	s_wait_loadcnt 0x0
	global_store_b32 v[6:7], v3, off
	s_wait_xcnt 0x0
	v_add_nc_u64_e32 v[6:7], s[52:53], v[6:7]
	s_add_co_i32 s60, s60, -1
	s_add_co_i32 s26, s26, s18
	s_cmp_eq_u32 s60, 0
	s_cbranch_scc1 .LBB4_20
.LBB4_24:                               ;   Parent Loop BB4_3 Depth=1
                                        ;     Parent Loop BB4_18 Depth=2
                                        ;       Parent Loop BB4_21 Depth=3
                                        ; =>      This Inner Loop Header: Depth=4
	s_ashr_i32 s27, s26, 31
	v_mov_b32_e32 v3, 0
	v_add_nc_u64_e32 v[16:17], s[26:27], v[12:13]
	s_delay_alu instid0(VALU_DEP_1) | instskip(SKIP_2) | instid1(SALU_CYCLE_1)
	v_cmp_lt_i64_e64 s2, -1, v[16:17]
	v_cmp_gt_i64_e64 s3, s[50:51], v[16:17]
	s_and_b32 s2, s59, s2
	s_and_b32 s2, s1, s2
	s_delay_alu instid0(SALU_CYCLE_1) | instskip(NEXT) | instid1(SALU_CYCLE_1)
	s_and_b32 s2, s2, vcc_lo
	s_and_b32 s3, s2, s3
	s_delay_alu instid0(SALU_CYCLE_1)
	s_and_saveexec_b32 s2, s3
	s_cbranch_execz .LBB4_23
; %bb.25:                               ;   in Loop: Header=BB4_24 Depth=4
	s_add_co_i32 s62, s58, s26
	s_delay_alu instid0(SALU_CYCLE_1) | instskip(NEXT) | instid1(SALU_CYCLE_1)
	s_ashr_i32 s63, s62, 31
	v_lshl_add_u64 v[16:17], s[62:63], 2, v[4:5]
	global_load_b32 v3, v[16:17], off
	s_branch .LBB4_23
.LBB4_26:
	s_endpgm
	.section	.rodata,"a",@progbits
	.p2align	6, 0x0
	.amdhsa_kernel _ZN2at6native14vol2col_kernelIfEEvlPKT_iiiiiiiiiiiiiiiiiiPS2_
		.amdhsa_group_segment_fixed_size 0
		.amdhsa_private_segment_fixed_size 0
		.amdhsa_kernarg_size 352
		.amdhsa_user_sgpr_count 2
		.amdhsa_user_sgpr_dispatch_ptr 0
		.amdhsa_user_sgpr_queue_ptr 0
		.amdhsa_user_sgpr_kernarg_segment_ptr 1
		.amdhsa_user_sgpr_dispatch_id 0
		.amdhsa_user_sgpr_kernarg_preload_length 0
		.amdhsa_user_sgpr_kernarg_preload_offset 0
		.amdhsa_user_sgpr_private_segment_size 0
		.amdhsa_wavefront_size32 1
		.amdhsa_uses_dynamic_stack 0
		.amdhsa_enable_private_segment 0
		.amdhsa_system_sgpr_workgroup_id_x 1
		.amdhsa_system_sgpr_workgroup_id_y 0
		.amdhsa_system_sgpr_workgroup_id_z 0
		.amdhsa_system_sgpr_workgroup_info 0
		.amdhsa_system_vgpr_workitem_id 0
		.amdhsa_next_free_vgpr 28
		.amdhsa_next_free_sgpr 66
		.amdhsa_named_barrier_count 0
		.amdhsa_reserve_vcc 1
		.amdhsa_float_round_mode_32 0
		.amdhsa_float_round_mode_16_64 0
		.amdhsa_float_denorm_mode_32 3
		.amdhsa_float_denorm_mode_16_64 3
		.amdhsa_fp16_overflow 0
		.amdhsa_memory_ordered 1
		.amdhsa_forward_progress 1
		.amdhsa_inst_pref_size 25
		.amdhsa_round_robin_scheduling 0
		.amdhsa_exception_fp_ieee_invalid_op 0
		.amdhsa_exception_fp_denorm_src 0
		.amdhsa_exception_fp_ieee_div_zero 0
		.amdhsa_exception_fp_ieee_overflow 0
		.amdhsa_exception_fp_ieee_underflow 0
		.amdhsa_exception_fp_ieee_inexact 0
		.amdhsa_exception_int_div_zero 0
	.end_amdhsa_kernel
	.section	.text._ZN2at6native14vol2col_kernelIfEEvlPKT_iiiiiiiiiiiiiiiiiiPS2_,"axG",@progbits,_ZN2at6native14vol2col_kernelIfEEvlPKT_iiiiiiiiiiiiiiiiiiPS2_,comdat
.Lfunc_end4:
	.size	_ZN2at6native14vol2col_kernelIfEEvlPKT_iiiiiiiiiiiiiiiiiiPS2_, .Lfunc_end4-_ZN2at6native14vol2col_kernelIfEEvlPKT_iiiiiiiiiiiiiiiiiiPS2_
                                        ; -- End function
	.set _ZN2at6native14vol2col_kernelIfEEvlPKT_iiiiiiiiiiiiiiiiiiPS2_.num_vgpr, 28
	.set _ZN2at6native14vol2col_kernelIfEEvlPKT_iiiiiiiiiiiiiiiiiiPS2_.num_agpr, 0
	.set _ZN2at6native14vol2col_kernelIfEEvlPKT_iiiiiiiiiiiiiiiiiiPS2_.numbered_sgpr, 66
	.set _ZN2at6native14vol2col_kernelIfEEvlPKT_iiiiiiiiiiiiiiiiiiPS2_.num_named_barrier, 0
	.set _ZN2at6native14vol2col_kernelIfEEvlPKT_iiiiiiiiiiiiiiiiiiPS2_.private_seg_size, 0
	.set _ZN2at6native14vol2col_kernelIfEEvlPKT_iiiiiiiiiiiiiiiiiiPS2_.uses_vcc, 1
	.set _ZN2at6native14vol2col_kernelIfEEvlPKT_iiiiiiiiiiiiiiiiiiPS2_.uses_flat_scratch, 0
	.set _ZN2at6native14vol2col_kernelIfEEvlPKT_iiiiiiiiiiiiiiiiiiPS2_.has_dyn_sized_stack, 0
	.set _ZN2at6native14vol2col_kernelIfEEvlPKT_iiiiiiiiiiiiiiiiiiPS2_.has_recursion, 0
	.set _ZN2at6native14vol2col_kernelIfEEvlPKT_iiiiiiiiiiiiiiiiiiPS2_.has_indirect_call, 0
	.section	.AMDGPU.csdata,"",@progbits
; Kernel info:
; codeLenInByte = 3132
; TotalNumSgprs: 68
; NumVgprs: 28
; ScratchSize: 0
; MemoryBound: 0
; FloatMode: 240
; IeeeMode: 1
; LDSByteSize: 0 bytes/workgroup (compile time only)
; SGPRBlocks: 0
; VGPRBlocks: 1
; NumSGPRsForWavesPerEU: 68
; NumVGPRsForWavesPerEU: 28
; NamedBarCnt: 0
; Occupancy: 16
; WaveLimiterHint : 0
; COMPUTE_PGM_RSRC2:SCRATCH_EN: 0
; COMPUTE_PGM_RSRC2:USER_SGPR: 2
; COMPUTE_PGM_RSRC2:TRAP_HANDLER: 0
; COMPUTE_PGM_RSRC2:TGID_X_EN: 1
; COMPUTE_PGM_RSRC2:TGID_Y_EN: 0
; COMPUTE_PGM_RSRC2:TGID_Z_EN: 0
; COMPUTE_PGM_RSRC2:TIDIG_COMP_CNT: 0
	.section	.text._ZN2at6native13im2col_kernelIfEEvlPKT_llllllllllllPS2_,"axG",@progbits,_ZN2at6native13im2col_kernelIfEEvlPKT_llllllllllllPS2_,comdat
	.protected	_ZN2at6native13im2col_kernelIfEEvlPKT_llllllllllllPS2_ ; -- Begin function _ZN2at6native13im2col_kernelIfEEvlPKT_llllllllllllPS2_
	.globl	_ZN2at6native13im2col_kernelIfEEvlPKT_llllllllllllPS2_
	.p2align	8
	.type	_ZN2at6native13im2col_kernelIfEEvlPKT_llllllllllllPS2_,@function
_ZN2at6native13im2col_kernelIfEEvlPKT_llllllllllllPS2_: ; @_ZN2at6native13im2col_kernelIfEEvlPKT_llllllllllllPS2_
; %bb.0:
	s_load_b32 s2, s[0:1], 0x84
	s_bfe_u32 s4, ttmp6, 0x4000c
	v_mov_b32_e32 v2, 0
	s_add_co_i32 s21, s4, 1
	s_load_b512 s[4:19], s[0:1], 0x0
	s_and_b32 s3, ttmp6, 15
	s_mul_i32 s21, ttmp9, s21
	s_getreg_b32 s20, hwreg(HW_REG_IB_STS2, 6, 4)
	v_mov_b32_e32 v1, v2
	s_add_co_i32 s3, s3, s21
	s_wait_kmcnt 0x0
	s_and_b32 s2, s2, 0xffff
	s_cmp_eq_u32 s20, 0
	s_mov_b32 s20, exec_lo
	s_cselect_b32 s3, ttmp9, s3
	s_delay_alu instid0(SALU_CYCLE_1) | instskip(SKIP_1) | instid1(VALU_DEP_1)
	v_mad_nc_u64_u32 v[0:1], s2, s3, v[0:1]
	s_mov_b32 s3, 0
	v_cmpx_gt_i64_e64 s[4:5], v[0:1]
	s_cbranch_execz .LBB5_19
; %bb.1:
	s_load_b256 s[20:27], s[0:1], 0x60
	s_wait_kmcnt 0x0
	s_add_nc_u64 s[26:27], s[0:1], 0x78
	v_cmp_gt_i64_e64 s33, s[12:13], 0
	s_load_b32 s28, s[26:27], 0x0
	s_load_b256 s[36:43], s[0:1], 0x40
	v_cmp_gt_i64_e64 s58, s[14:15], 0
	s_mov_b32 s29, s3
	s_lshl_b64 s[30:31], s[10:11], 2
	s_mov_b64 s[48:49], 0xffffffff
	s_mov_b32 s59, 0
	v_cvt_f32_u32_e32 v3, s22
	s_wait_xcnt 0x0
	s_mul_u64 s[0:1], s[14:15], s[20:21]
	s_wait_kmcnt 0x0
	s_mul_i32 s28, s28, s2
	s_mul_u64 s[26:27], s[0:1], s[12:13]
	s_lshl_b64 s[0:1], s[18:19], 2
	v_rcp_iflag_f32_e32 v3, v3
	s_sub_nc_u64 s[0:1], 0, s[0:1]
	s_lshl_b64 s[34:35], s[38:39], 2
	s_add_nc_u64 s[6:7], s[6:7], s[0:1]
	s_mul_u64 s[0:1], s[40:41], s[10:11]
	s_lshl_b64 s[46:47], s[42:43], 2
	s_lshl_b64 s[44:45], s[0:1], 2
	v_nop
	v_mul_f32_e32 v3, 0x4f7ffffe, v3
	s_mul_u64 s[0:1], s[22:23], s[20:21]
	s_ashr_i32 s52, s23, 31
	s_lshl_b64 s[50:51], s[0:1], 2
	s_delay_alu instid0(VALU_DEP_1)
	v_cvt_u32_f32_e32 v16, v3
	s_branch .LBB5_3
.LBB5_2:                                ;   in Loop: Header=BB5_3 Depth=1
	v_add_nc_u64_e32 v[0:1], s[28:29], v[0:1]
	s_delay_alu instid0(VALU_DEP_1) | instskip(SKIP_1) | instid1(SALU_CYCLE_1)
	v_cmp_le_i64_e32 vcc_lo, s[4:5], v[0:1]
	s_or_b32 s59, vcc_lo, s59
	s_and_not1_b32 exec_lo, exec_lo, s59
	s_cbranch_execz .LBB5_19
.LBB5_3:                                ; =>This Loop Header: Depth=1
                                        ;     Child Loop BB5_14 Depth 2
                                        ;       Child Loop BB5_17 Depth 3
	v_or_b32_e32 v3, s23, v1
                                        ; implicit-def: $vgpr4_vgpr5
	s_mov_b32 s0, exec_lo
	s_delay_alu instid0(VALU_DEP_1)
	v_cmpx_ne_u64_e32 0, v[2:3]
	s_xor_b32 s1, exec_lo, s0
	s_cbranch_execz .LBB5_5
; %bb.4:                                ;   in Loop: Header=BB5_3 Depth=1
	s_mov_b32 s53, s52
	v_dual_mov_b32 v9, v2 :: v_dual_ashrrev_i32 v4, 31, v1
	s_add_nc_u64 s[54:55], s[22:23], s[52:53]
	s_delay_alu instid0(SALU_CYCLE_1) | instskip(NEXT) | instid1(VALU_DEP_1)
	s_xor_b64 s[54:55], s[54:55], s[52:53]
	v_mov_b32_e32 v5, v4
	s_cvt_f32_u32 s0, s54
	s_cvt_f32_u32 s2, s55
	s_sub_nc_u64 s[60:61], 0, s[54:55]
	s_delay_alu instid0(VALU_DEP_1) | instskip(NEXT) | instid1(SALU_CYCLE_1)
	v_add_nc_u64_e32 v[6:7], v[0:1], v[4:5]
	s_fmamk_f32 s0, s2, 0x4f800000, s0
	v_mov_b32_e32 v13, v2
	s_delay_alu instid0(SALU_CYCLE_2) | instskip(NEXT) | instid1(VALU_DEP_2)
	v_s_rcp_f32 s0, s0
	v_xor_b32_e32 v8, v6, v4
	s_delay_alu instid0(VALU_DEP_3) | instskip(SKIP_1) | instid1(TRANS32_DEP_1)
	v_dual_mov_b32 v19, v2 :: v_dual_bitop2_b32 v12, v7, v4 bitop3:0x14
	v_xor_b32_e32 v4, s52, v4
	s_mul_f32 s0, s0, 0x5f7ffffc
	s_delay_alu instid0(SALU_CYCLE_3) | instskip(NEXT) | instid1(SALU_CYCLE_3)
	s_mul_f32 s2, s0, 0x2f800000
	s_trunc_f32 s2, s2
	s_delay_alu instid0(SALU_CYCLE_3) | instskip(SKIP_1) | instid1(SALU_CYCLE_2)
	s_fmamk_f32 s0, s2, 0xcf800000, s0
	s_cvt_u32_f32 s57, s2
	s_cvt_u32_f32 s56, s0
	s_delay_alu instid0(SALU_CYCLE_3) | instskip(NEXT) | instid1(SALU_CYCLE_1)
	s_mul_u64 s[62:63], s[60:61], s[56:57]
	s_mul_hi_u32 s65, s56, s63
	s_mul_i32 s64, s56, s63
	s_mul_hi_u32 s2, s56, s62
	s_mul_i32 s53, s57, s62
	s_add_nc_u64 s[64:65], s[2:3], s[64:65]
	s_mul_hi_u32 s0, s57, s62
	s_mul_hi_u32 s66, s57, s63
	s_add_co_u32 s2, s64, s53
	s_add_co_ci_u32 s2, s65, s0
	s_mul_i32 s62, s57, s63
	s_add_co_ci_u32 s63, s66, 0
	s_delay_alu instid0(SALU_CYCLE_1) | instskip(NEXT) | instid1(SALU_CYCLE_1)
	s_add_nc_u64 s[62:63], s[2:3], s[62:63]
	s_add_co_u32 s56, s56, s62
	s_cselect_b32 s0, -1, 0
	s_delay_alu instid0(SALU_CYCLE_1) | instskip(SKIP_1) | instid1(SALU_CYCLE_1)
	s_cmp_lg_u32 s0, 0
	s_add_co_ci_u32 s57, s57, s63
	s_mul_u64 s[60:61], s[60:61], s[56:57]
	s_delay_alu instid0(SALU_CYCLE_1)
	s_mul_hi_u32 s63, s56, s61
	s_mul_i32 s62, s56, s61
	s_mul_hi_u32 s2, s56, s60
	s_mul_i32 s53, s57, s60
	s_add_nc_u64 s[62:63], s[2:3], s[62:63]
	s_mul_hi_u32 s0, s57, s60
	s_mul_hi_u32 s64, s57, s61
	s_add_co_u32 s2, s62, s53
	s_add_co_ci_u32 s2, s63, s0
	s_mul_i32 s60, s57, s61
	s_add_co_ci_u32 s61, s64, 0
	s_delay_alu instid0(SALU_CYCLE_1) | instskip(NEXT) | instid1(SALU_CYCLE_1)
	s_add_nc_u64 s[60:61], s[2:3], s[60:61]
	s_add_co_u32 s0, s56, s60
	s_cselect_b32 s2, -1, 0
	v_mul_hi_u32 v18, v8, s0
	s_cmp_lg_u32 s2, 0
	s_add_co_ci_u32 s2, s57, s61
	s_and_b64 s[56:57], s[0:1], s[48:49]
	v_mul_u64_e32 v[10:11], s[2:3], v[8:9]
	v_mul_u64_e32 v[6:7], s[56:57], v[12:13]
	;; [unrolled: 1-line block ×3, first 2 shown]
	s_delay_alu instid0(VALU_DEP_3) | instskip(NEXT) | instid1(VALU_DEP_1)
	v_add_nc_u64_e32 v[10:11], v[18:19], v[10:11]
	v_add_co_u32 v3, vcc_lo, v10, v6
	s_delay_alu instid0(VALU_DEP_2) | instskip(NEXT) | instid1(VALU_DEP_4)
	v_add_co_ci_u32_e32 v18, vcc_lo, v11, v7, vcc_lo
	v_add_co_ci_u32_e32 v15, vcc_lo, 0, v15, vcc_lo
	s_delay_alu instid0(VALU_DEP_1) | instskip(NEXT) | instid1(VALU_DEP_1)
	v_add_nc_u64_e32 v[6:7], v[18:19], v[14:15]
	v_mul_u64_e32 v[10:11], s[54:55], v[6:7]
	s_delay_alu instid0(VALU_DEP_1) | instskip(NEXT) | instid1(VALU_DEP_2)
	v_sub_nc_u32_e32 v3, v12, v11
	v_sub_co_u32 v5, vcc_lo, v8, v10
	s_delay_alu instid0(VALU_DEP_1) | instskip(NEXT) | instid1(VALU_DEP_3)
	v_sub_co_ci_u32_e64 v12, null, v12, v11, vcc_lo
	v_subrev_co_ci_u32_e64 v3, null, s55, v3, vcc_lo
	s_delay_alu instid0(VALU_DEP_3) | instskip(SKIP_1) | instid1(VALU_DEP_3)
	v_sub_co_u32 v8, s0, v5, s54
	v_add_nc_u64_e32 v[10:11], 1, v[6:7]
	v_subrev_co_ci_u32_e64 v3, null, 0, v3, s0
	s_delay_alu instid0(VALU_DEP_3) | instskip(SKIP_1) | instid1(VALU_DEP_3)
	v_cmp_le_u32_e32 vcc_lo, s54, v8
	v_cndmask_b32_e64 v8, 0, -1, vcc_lo
	v_cmp_le_u32_e32 vcc_lo, s55, v3
	v_cndmask_b32_e64 v9, 0, -1, vcc_lo
	;; [unrolled: 2-line block ×4, first 2 shown]
	v_cmp_eq_u32_e32 vcc_lo, s55, v3
	v_cndmask_b32_e32 v3, v9, v8, vcc_lo
	v_cmp_eq_u32_e32 vcc_lo, s55, v12
	v_add_nc_u64_e32 v[8:9], 2, v[6:7]
	v_cndmask_b32_e32 v5, v13, v5, vcc_lo
	s_delay_alu instid0(VALU_DEP_4) | instskip(NEXT) | instid1(VALU_DEP_2)
	v_cmp_ne_u32_e32 vcc_lo, 0, v3
	v_cmp_ne_u32_e64 s0, 0, v5
	s_delay_alu instid0(VALU_DEP_4) | instskip(NEXT) | instid1(VALU_DEP_1)
	v_dual_cndmask_b32 v3, v11, v9, vcc_lo :: v_dual_cndmask_b32 v5, v10, v8, vcc_lo
	v_dual_cndmask_b32 v6, v6, v5, s0 :: v_dual_mov_b32 v5, v4
	s_delay_alu instid0(VALU_DEP_1) | instskip(NEXT) | instid1(VALU_DEP_1)
	v_dual_cndmask_b32 v3, v7, v3, s0 :: v_dual_bitop2_b32 v6, v6, v4 bitop3:0x14
	v_xor_b32_e32 v7, v3, v4
	s_delay_alu instid0(VALU_DEP_1)
	v_sub_nc_u64_e32 v[4:5], v[6:7], v[4:5]
.LBB5_5:                                ;   in Loop: Header=BB5_3 Depth=1
	s_and_not1_saveexec_b32 s0, s1
	s_cbranch_execz .LBB5_7
; %bb.6:                                ;   in Loop: Header=BB5_3 Depth=1
	s_sub_co_i32 s1, 0, s22
	s_delay_alu instid0(SALU_CYCLE_1) | instskip(NEXT) | instid1(VALU_DEP_1)
	v_mul_lo_u32 v3, s1, v16
	v_mul_hi_u32 v3, v16, v3
	s_delay_alu instid0(VALU_DEP_1) | instskip(NEXT) | instid1(VALU_DEP_1)
	v_add_nc_u32_e32 v3, v16, v3
	v_mul_hi_u32 v3, v0, v3
	s_delay_alu instid0(VALU_DEP_1) | instskip(NEXT) | instid1(VALU_DEP_1)
	v_mul_lo_u32 v4, v3, s22
	v_dual_add_nc_u32 v5, 1, v3 :: v_dual_sub_nc_u32 v4, v0, v4
	s_delay_alu instid0(VALU_DEP_1) | instskip(SKIP_1) | instid1(VALU_DEP_2)
	v_subrev_nc_u32_e32 v6, s22, v4
	v_cmp_le_u32_e32 vcc_lo, s22, v4
	v_dual_cndmask_b32 v4, v4, v6 :: v_dual_cndmask_b32 v3, v3, v5
	s_delay_alu instid0(VALU_DEP_1) | instskip(NEXT) | instid1(VALU_DEP_2)
	v_cmp_le_u32_e32 vcc_lo, s22, v4
	v_add_nc_u32_e32 v5, 1, v3
	s_delay_alu instid0(VALU_DEP_1)
	v_dual_cndmask_b32 v4, v3, v5 :: v_dual_mov_b32 v5, v2
.LBB5_7:                                ;   in Loop: Header=BB5_3 Depth=1
	s_or_b32 exec_lo, exec_lo, s0
	s_delay_alu instid0(VALU_DEP_1) | instskip(SKIP_1) | instid1(VALU_DEP_1)
	v_or_b32_e32 v3, s21, v5
                                        ; implicit-def: $vgpr6_vgpr7
	s_mov_b32 s0, exec_lo
	v_cmpx_ne_u64_e32 0, v[2:3]
	s_xor_b32 s1, exec_lo, s0
	s_cbranch_execnz .LBB5_10
; %bb.8:                                ;   in Loop: Header=BB5_3 Depth=1
	s_and_not1_saveexec_b32 s0, s1
	s_cbranch_execnz .LBB5_11
.LBB5_9:                                ;   in Loop: Header=BB5_3 Depth=1
	s_or_b32 exec_lo, exec_lo, s0
	s_delay_alu instid0(SALU_CYCLE_1)
	s_and_not1_b32 vcc_lo, exec_lo, s33
	s_cbranch_vccz .LBB5_12
	s_branch .LBB5_2
.LBB5_10:                               ;   in Loop: Header=BB5_3 Depth=1
	s_ashr_i32 s54, s21, 31
	v_dual_mov_b32 v11, v2 :: v_dual_ashrrev_i32 v6, 31, v5
	s_mov_b32 s55, s54
	v_mov_b32_e32 v21, v2
	s_add_nc_u64 s[56:57], s[20:21], s[54:55]
	s_delay_alu instid0(VALU_DEP_2) | instskip(SKIP_1) | instid1(SALU_CYCLE_1)
	v_mov_b32_e32 v7, v6
	s_xor_b64 s[56:57], s[56:57], s[54:55]
	s_cvt_f32_u32 s0, s56
	s_cvt_f32_u32 s2, s57
	s_sub_nc_u64 s[62:63], 0, s[56:57]
	v_add_nc_u64_e32 v[8:9], v[4:5], v[6:7]
	v_mov_b32_e32 v15, v2
	s_fmamk_f32 s0, s2, 0x4f800000, s0
	s_delay_alu instid0(SALU_CYCLE_3) | instskip(NEXT) | instid1(VALU_DEP_2)
	v_s_rcp_f32 s0, s0
	v_xor_b32_e32 v10, v8, v6
	s_delay_alu instid0(VALU_DEP_3) | instskip(NEXT) | instid1(TRANS32_DEP_1)
	v_xor_b32_e32 v14, v9, v6
	s_mul_f32 s0, s0, 0x5f7ffffc
	s_delay_alu instid0(SALU_CYCLE_3) | instskip(NEXT) | instid1(SALU_CYCLE_3)
	s_mul_f32 s2, s0, 0x2f800000
	s_trunc_f32 s2, s2
	s_delay_alu instid0(SALU_CYCLE_3) | instskip(SKIP_1) | instid1(SALU_CYCLE_2)
	s_fmamk_f32 s0, s2, 0xcf800000, s0
	s_cvt_u32_f32 s61, s2
	s_cvt_u32_f32 s60, s0
	s_delay_alu instid0(SALU_CYCLE_3) | instskip(NEXT) | instid1(SALU_CYCLE_1)
	s_mul_u64 s[64:65], s[62:63], s[60:61]
	s_mul_hi_u32 s67, s60, s65
	s_mul_i32 s66, s60, s65
	s_mul_hi_u32 s2, s60, s64
	s_mul_i32 s53, s61, s64
	s_add_nc_u64 s[66:67], s[2:3], s[66:67]
	s_mul_hi_u32 s0, s61, s64
	s_mul_hi_u32 s55, s61, s65
	s_add_co_u32 s2, s66, s53
	s_add_co_ci_u32 s2, s67, s0
	s_mul_i32 s64, s61, s65
	s_add_co_ci_u32 s65, s55, 0
	s_delay_alu instid0(SALU_CYCLE_1) | instskip(NEXT) | instid1(SALU_CYCLE_1)
	s_add_nc_u64 s[64:65], s[2:3], s[64:65]
	s_add_co_u32 s60, s60, s64
	s_cselect_b32 s0, -1, 0
	s_delay_alu instid0(SALU_CYCLE_1) | instskip(SKIP_1) | instid1(SALU_CYCLE_1)
	s_cmp_lg_u32 s0, 0
	s_add_co_ci_u32 s61, s61, s65
	s_mul_u64 s[62:63], s[62:63], s[60:61]
	s_delay_alu instid0(SALU_CYCLE_1)
	s_mul_hi_u32 s65, s60, s63
	s_mul_i32 s64, s60, s63
	s_mul_hi_u32 s2, s60, s62
	s_mul_i32 s53, s61, s62
	s_add_nc_u64 s[64:65], s[2:3], s[64:65]
	s_mul_hi_u32 s0, s61, s62
	s_mul_hi_u32 s55, s61, s63
	s_add_co_u32 s2, s64, s53
	s_add_co_ci_u32 s2, s65, s0
	s_mul_i32 s62, s61, s63
	s_add_co_ci_u32 s63, s55, 0
	s_delay_alu instid0(SALU_CYCLE_1) | instskip(NEXT) | instid1(SALU_CYCLE_1)
	s_add_nc_u64 s[62:63], s[2:3], s[62:63]
	s_add_co_u32 s0, s60, s62
	s_cselect_b32 s2, -1, 0
	v_mul_hi_u32 v20, v10, s0
	s_cmp_lg_u32 s2, 0
	s_add_co_ci_u32 s2, s61, s63
	s_and_b64 s[60:61], s[0:1], s[48:49]
	v_mul_u64_e32 v[12:13], s[2:3], v[10:11]
	v_mul_u64_e32 v[8:9], s[60:61], v[14:15]
	;; [unrolled: 1-line block ×3, first 2 shown]
	s_delay_alu instid0(VALU_DEP_3) | instskip(NEXT) | instid1(VALU_DEP_1)
	v_add_nc_u64_e32 v[12:13], v[20:21], v[12:13]
	v_add_co_u32 v3, vcc_lo, v12, v8
	s_delay_alu instid0(VALU_DEP_2) | instskip(NEXT) | instid1(VALU_DEP_4)
	v_add_co_ci_u32_e32 v20, vcc_lo, v13, v9, vcc_lo
	v_add_co_ci_u32_e32 v19, vcc_lo, 0, v19, vcc_lo
	s_delay_alu instid0(VALU_DEP_1) | instskip(NEXT) | instid1(VALU_DEP_1)
	v_add_nc_u64_e32 v[8:9], v[20:21], v[18:19]
	v_mul_u64_e32 v[12:13], s[56:57], v[8:9]
	s_delay_alu instid0(VALU_DEP_1) | instskip(NEXT) | instid1(VALU_DEP_2)
	v_sub_nc_u32_e32 v3, v14, v13
	v_sub_co_u32 v7, vcc_lo, v10, v12
	s_delay_alu instid0(VALU_DEP_1) | instskip(NEXT) | instid1(VALU_DEP_3)
	v_sub_co_ci_u32_e64 v14, null, v14, v13, vcc_lo
	v_subrev_co_ci_u32_e64 v3, null, s57, v3, vcc_lo
	s_delay_alu instid0(VALU_DEP_3) | instskip(SKIP_1) | instid1(VALU_DEP_3)
	v_sub_co_u32 v10, s0, v7, s56
	v_add_nc_u64_e32 v[12:13], 1, v[8:9]
	v_subrev_co_ci_u32_e64 v3, null, 0, v3, s0
	s_delay_alu instid0(VALU_DEP_3) | instskip(SKIP_1) | instid1(VALU_DEP_3)
	v_cmp_le_u32_e32 vcc_lo, s56, v10
	v_cndmask_b32_e64 v10, 0, -1, vcc_lo
	v_cmp_le_u32_e32 vcc_lo, s57, v3
	v_cndmask_b32_e64 v11, 0, -1, vcc_lo
	;; [unrolled: 2-line block ×4, first 2 shown]
	v_cmp_eq_u32_e32 vcc_lo, s57, v3
	v_cndmask_b32_e32 v3, v11, v10, vcc_lo
	v_cmp_eq_u32_e32 vcc_lo, s57, v14
	v_add_nc_u64_e32 v[10:11], 2, v[8:9]
	v_cndmask_b32_e32 v7, v15, v7, vcc_lo
	s_delay_alu instid0(VALU_DEP_4) | instskip(NEXT) | instid1(VALU_DEP_2)
	v_cmp_ne_u32_e32 vcc_lo, 0, v3
	v_cmp_ne_u32_e64 s0, 0, v7
	s_delay_alu instid0(VALU_DEP_4) | instskip(NEXT) | instid1(VALU_DEP_1)
	v_dual_cndmask_b32 v3, v13, v11, vcc_lo :: v_dual_cndmask_b32 v7, v12, v10, vcc_lo
	v_dual_cndmask_b32 v3, v9, v3, s0 :: v_dual_bitop2_b32 v6, s54, v6 bitop3:0x14
	s_delay_alu instid0(VALU_DEP_1) | instskip(NEXT) | instid1(VALU_DEP_2)
	v_dual_cndmask_b32 v8, v8, v7, s0 :: v_dual_mov_b32 v7, v6
	v_xor_b32_e32 v9, v3, v6
	s_delay_alu instid0(VALU_DEP_2) | instskip(NEXT) | instid1(VALU_DEP_1)
	v_xor_b32_e32 v8, v8, v6
	v_sub_nc_u64_e32 v[6:7], v[8:9], v[6:7]
	s_and_not1_saveexec_b32 s0, s1
	s_cbranch_execz .LBB5_9
.LBB5_11:                               ;   in Loop: Header=BB5_3 Depth=1
	v_cvt_f32_u32_e32 v3, s20
	s_sub_co_i32 s1, 0, s20
	s_delay_alu instid0(VALU_DEP_1) | instskip(SKIP_1) | instid1(TRANS32_DEP_1)
	v_rcp_iflag_f32_e32 v3, v3
	v_nop
	v_mul_f32_e32 v3, 0x4f7ffffe, v3
	s_delay_alu instid0(VALU_DEP_1) | instskip(NEXT) | instid1(VALU_DEP_1)
	v_cvt_u32_f32_e32 v3, v3
	v_mul_lo_u32 v6, s1, v3
	s_delay_alu instid0(VALU_DEP_1) | instskip(NEXT) | instid1(VALU_DEP_1)
	v_mul_hi_u32 v6, v3, v6
	v_add_nc_u32_e32 v3, v3, v6
	s_delay_alu instid0(VALU_DEP_1) | instskip(NEXT) | instid1(VALU_DEP_1)
	v_mul_hi_u32 v3, v4, v3
	v_mul_lo_u32 v6, v3, s20
	s_delay_alu instid0(VALU_DEP_1) | instskip(NEXT) | instid1(VALU_DEP_1)
	v_dual_add_nc_u32 v7, 1, v3 :: v_dual_sub_nc_u32 v6, v4, v6
	v_subrev_nc_u32_e32 v8, s20, v6
	v_cmp_le_u32_e32 vcc_lo, s20, v6
	s_delay_alu instid0(VALU_DEP_2) | instskip(NEXT) | instid1(VALU_DEP_1)
	v_dual_cndmask_b32 v6, v6, v8 :: v_dual_cndmask_b32 v3, v3, v7
	v_cmp_le_u32_e32 vcc_lo, s20, v6
	s_delay_alu instid0(VALU_DEP_2) | instskip(NEXT) | instid1(VALU_DEP_1)
	v_add_nc_u32_e32 v7, 1, v3
	v_dual_cndmask_b32 v6, v3, v7 :: v_dual_mov_b32 v7, v2
	s_or_b32 exec_lo, exec_lo, s0
	s_delay_alu instid0(SALU_CYCLE_1)
	s_and_not1_b32 vcc_lo, exec_lo, s33
	s_cbranch_vccnz .LBB5_2
.LBB5_12:                               ;   in Loop: Header=BB5_3 Depth=1
	s_delay_alu instid0(VALU_DEP_1) | instskip(SKIP_2) | instid1(VALU_DEP_2)
	v_mul_u64_e32 v[8:9], s[20:21], v[6:7]
	v_mul_u64_e32 v[10:11], s[22:23], v[4:5]
	s_mov_b64 s[54:55], 0
	v_sub_nc_u64_e32 v[4:5], v[4:5], v[8:9]
	s_delay_alu instid0(VALU_DEP_2) | instskip(NEXT) | instid1(VALU_DEP_2)
	v_sub_nc_u64_e32 v[10:11], v[0:1], v[10:11]
	v_mul_u64_e32 v[8:9], s[36:37], v[4:5]
	v_mad_nc_u64_u32 v[12:13], s26, v6, v[4:5]
	s_delay_alu instid0(VALU_DEP_3) | instskip(SKIP_1) | instid1(VALU_DEP_3)
	v_mul_u64_e32 v[14:15], s[34:35], v[10:11]
	v_mul_u64_e32 v[18:19], s[38:39], v[10:11]
	v_mad_u32 v3, s27, v6, v13
	s_delay_alu instid0(VALU_DEP_1) | instskip(SKIP_1) | instid1(VALU_DEP_2)
	v_mad_u32 v13, s26, v7, v3
	v_sub_nc_u64_e64 v[4:5], v[8:9], s[16:17]
	v_mul_u64_e32 v[12:13], s[22:23], v[12:13]
	s_delay_alu instid0(VALU_DEP_2) | instskip(NEXT) | instid1(VALU_DEP_1)
	v_mad_nc_u64_u32 v[8:9], v6, s8, v[4:5]
	v_mad_u32 v3, v7, s8, v9
	s_delay_alu instid0(VALU_DEP_2) | instskip(NEXT) | instid1(VALU_DEP_2)
	v_mad_nc_u64_u32 v[14:15], s30, v8, v[14:15]
	v_mad_u32 v3, v6, s9, v3
	s_delay_alu instid0(VALU_DEP_2) | instskip(SKIP_1) | instid1(VALU_DEP_1)
	v_mad_u32 v6, s31, v8, v15
	v_lshl_add_u64 v[12:13], v[12:13], 2, s[24:25]
	v_lshl_add_u64 v[10:11], v[10:11], 2, v[12:13]
	s_delay_alu instid0(VALU_DEP_3) | instskip(SKIP_1) | instid1(VALU_DEP_2)
	v_mad_u32 v15, s30, v3, v6
	v_sub_nc_u64_e64 v[6:7], v[18:19], s[18:19]
	v_add_nc_u64_e32 v[8:9], s[6:7], v[14:15]
	s_branch .LBB5_14
.LBB5_13:                               ;   in Loop: Header=BB5_14 Depth=2
	s_delay_alu instid0(VALU_DEP_1) | instskip(SKIP_1) | instid1(SALU_CYCLE_1)
	v_add_nc_u64_e32 v[8:9], s[44:45], v[8:9]
	s_add_nc_u64 s[54:55], s[54:55], 1
	s_cmp_eq_u64 s[54:55], s[12:13]
	s_cbranch_scc1 .LBB5_2
.LBB5_14:                               ;   Parent Loop BB5_3 Depth=1
                                        ; =>  This Loop Header: Depth=2
                                        ;       Child Loop BB5_17 Depth 3
	s_and_not1_b32 vcc_lo, exec_lo, s58
	s_cbranch_vccnz .LBB5_13
; %bb.15:                               ;   in Loop: Header=BB5_14 Depth=2
	v_mad_nc_u64_u32 v[12:13], s54, s40, v[4:5]
	s_mul_i32 s0, s55, s40
	s_mul_i32 s1, s54, s41
	v_mov_b64_e32 v[14:15], v[8:9]
	s_mov_b64 s[56:57], s[14:15]
	s_delay_alu instid0(VALU_DEP_2) | instskip(NEXT) | instid1(VALU_DEP_1)
	v_add3_u32 v13, s1, s0, v13
	v_cmp_lt_i64_e32 vcc_lo, -1, v[12:13]
	v_cmp_gt_i64_e64 s0, s[8:9], v[12:13]
	v_mov_b64_e32 v[12:13], v[6:7]
	s_branch .LBB5_17
.LBB5_16:                               ;   in Loop: Header=BB5_17 Depth=3
	s_wait_xcnt 0x0
	s_or_b32 exec_lo, exec_lo, s1
	s_wait_loadcnt 0x0
	global_store_b32 v[10:11], v3, off
	v_add_nc_u64_e32 v[14:15], s[46:47], v[14:15]
	v_add_nc_u64_e32 v[12:13], s[42:43], v[12:13]
	s_wait_xcnt 0x0
	v_add_nc_u64_e32 v[10:11], s[50:51], v[10:11]
	s_add_nc_u64 s[56:57], s[56:57], -1
	s_delay_alu instid0(SALU_CYCLE_1)
	s_cmp_eq_u64 s[56:57], 0
	s_cbranch_scc1 .LBB5_13
.LBB5_17:                               ;   Parent Loop BB5_3 Depth=1
                                        ;     Parent Loop BB5_14 Depth=2
                                        ; =>    This Inner Loop Header: Depth=3
	s_delay_alu instid0(VALU_DEP_1) | instskip(SKIP_3) | instid1(SALU_CYCLE_1)
	v_cmp_lt_i64_e64 s1, -1, v[12:13]
	v_cmp_gt_i64_e64 s2, s[10:11], v[12:13]
	v_mov_b32_e32 v3, 0
	s_and_b32 s1, vcc_lo, s1
	s_and_b32 s1, s0, s1
	s_delay_alu instid0(SALU_CYCLE_1) | instskip(NEXT) | instid1(SALU_CYCLE_1)
	s_and_b32 s2, s1, s2
	s_and_saveexec_b32 s1, s2
	s_cbranch_execz .LBB5_16
; %bb.18:                               ;   in Loop: Header=BB5_17 Depth=3
	global_load_b32 v3, v[14:15], off
	s_branch .LBB5_16
.LBB5_19:
	s_endpgm
	.section	.rodata,"a",@progbits
	.p2align	6, 0x0
	.amdhsa_kernel _ZN2at6native13im2col_kernelIfEEvlPKT_llllllllllllPS2_
		.amdhsa_group_segment_fixed_size 0
		.amdhsa_private_segment_fixed_size 0
		.amdhsa_kernarg_size 376
		.amdhsa_user_sgpr_count 2
		.amdhsa_user_sgpr_dispatch_ptr 0
		.amdhsa_user_sgpr_queue_ptr 0
		.amdhsa_user_sgpr_kernarg_segment_ptr 1
		.amdhsa_user_sgpr_dispatch_id 0
		.amdhsa_user_sgpr_kernarg_preload_length 0
		.amdhsa_user_sgpr_kernarg_preload_offset 0
		.amdhsa_user_sgpr_private_segment_size 0
		.amdhsa_wavefront_size32 1
		.amdhsa_uses_dynamic_stack 0
		.amdhsa_enable_private_segment 0
		.amdhsa_system_sgpr_workgroup_id_x 1
		.amdhsa_system_sgpr_workgroup_id_y 0
		.amdhsa_system_sgpr_workgroup_id_z 0
		.amdhsa_system_sgpr_workgroup_info 0
		.amdhsa_system_vgpr_workitem_id 0
		.amdhsa_next_free_vgpr 22
		.amdhsa_next_free_sgpr 68
		.amdhsa_named_barrier_count 0
		.amdhsa_reserve_vcc 1
		.amdhsa_float_round_mode_32 0
		.amdhsa_float_round_mode_16_64 0
		.amdhsa_float_denorm_mode_32 3
		.amdhsa_float_denorm_mode_16_64 3
		.amdhsa_fp16_overflow 0
		.amdhsa_memory_ordered 1
		.amdhsa_forward_progress 1
		.amdhsa_inst_pref_size 17
		.amdhsa_round_robin_scheduling 0
		.amdhsa_exception_fp_ieee_invalid_op 0
		.amdhsa_exception_fp_denorm_src 0
		.amdhsa_exception_fp_ieee_div_zero 0
		.amdhsa_exception_fp_ieee_overflow 0
		.amdhsa_exception_fp_ieee_underflow 0
		.amdhsa_exception_fp_ieee_inexact 0
		.amdhsa_exception_int_div_zero 0
	.end_amdhsa_kernel
	.section	.text._ZN2at6native13im2col_kernelIfEEvlPKT_llllllllllllPS2_,"axG",@progbits,_ZN2at6native13im2col_kernelIfEEvlPKT_llllllllllllPS2_,comdat
.Lfunc_end5:
	.size	_ZN2at6native13im2col_kernelIfEEvlPKT_llllllllllllPS2_, .Lfunc_end5-_ZN2at6native13im2col_kernelIfEEvlPKT_llllllllllllPS2_
                                        ; -- End function
	.set _ZN2at6native13im2col_kernelIfEEvlPKT_llllllllllllPS2_.num_vgpr, 22
	.set _ZN2at6native13im2col_kernelIfEEvlPKT_llllllllllllPS2_.num_agpr, 0
	.set _ZN2at6native13im2col_kernelIfEEvlPKT_llllllllllllPS2_.numbered_sgpr, 68
	.set _ZN2at6native13im2col_kernelIfEEvlPKT_llllllllllllPS2_.num_named_barrier, 0
	.set _ZN2at6native13im2col_kernelIfEEvlPKT_llllllllllllPS2_.private_seg_size, 0
	.set _ZN2at6native13im2col_kernelIfEEvlPKT_llllllllllllPS2_.uses_vcc, 1
	.set _ZN2at6native13im2col_kernelIfEEvlPKT_llllllllllllPS2_.uses_flat_scratch, 0
	.set _ZN2at6native13im2col_kernelIfEEvlPKT_llllllllllllPS2_.has_dyn_sized_stack, 0
	.set _ZN2at6native13im2col_kernelIfEEvlPKT_llllllllllllPS2_.has_recursion, 0
	.set _ZN2at6native13im2col_kernelIfEEvlPKT_llllllllllllPS2_.has_indirect_call, 0
	.section	.AMDGPU.csdata,"",@progbits
; Kernel info:
; codeLenInByte = 2160
; TotalNumSgprs: 70
; NumVgprs: 22
; ScratchSize: 0
; MemoryBound: 0
; FloatMode: 240
; IeeeMode: 1
; LDSByteSize: 0 bytes/workgroup (compile time only)
; SGPRBlocks: 0
; VGPRBlocks: 1
; NumSGPRsForWavesPerEU: 70
; NumVGPRsForWavesPerEU: 22
; NamedBarCnt: 0
; Occupancy: 16
; WaveLimiterHint : 0
; COMPUTE_PGM_RSRC2:SCRATCH_EN: 0
; COMPUTE_PGM_RSRC2:USER_SGPR: 2
; COMPUTE_PGM_RSRC2:TRAP_HANDLER: 0
; COMPUTE_PGM_RSRC2:TGID_X_EN: 1
; COMPUTE_PGM_RSRC2:TGID_Y_EN: 0
; COMPUTE_PGM_RSRC2:TGID_Z_EN: 0
; COMPUTE_PGM_RSRC2:TIDIG_COMP_CNT: 0
	.section	.text._ZN2at6native13vol2im_kernelIffEEvlPKT_jjjjjjjjjjjjjjjjjjjPS2_,"axG",@progbits,_ZN2at6native13vol2im_kernelIffEEvlPKT_jjjjjjjjjjjjjjjjjjjPS2_,comdat
	.protected	_ZN2at6native13vol2im_kernelIffEEvlPKT_jjjjjjjjjjjjjjjjjjjPS2_ ; -- Begin function _ZN2at6native13vol2im_kernelIffEEvlPKT_jjjjjjjjjjjjjjjjjjjPS2_
	.globl	_ZN2at6native13vol2im_kernelIffEEvlPKT_jjjjjjjjjjjjjjjjjjjPS2_
	.p2align	8
	.type	_ZN2at6native13vol2im_kernelIffEEvlPKT_jjjjjjjjjjjjjjjjjjjPS2_,@function
_ZN2at6native13vol2im_kernelIffEEvlPKT_jjjjjjjjjjjjjjjjjjjPS2_: ; @_ZN2at6native13vol2im_kernelIffEEvlPKT_jjjjjjjjjjjjjjjjjjjPS2_
; %bb.0:
	s_clause 0x1
	s_load_b32 s2, s[0:1], 0x74
	s_load_b128 s[20:23], s[0:1], 0x0
	s_bfe_u32 s3, ttmp6, 0x4000c
	s_and_b32 s4, ttmp6, 15
	s_add_co_i32 s3, s3, 1
	s_getreg_b32 s5, hwreg(HW_REG_IB_STS2, 6, 4)
	s_mul_i32 s3, ttmp9, s3
	v_mov_b32_e32 v1, 0
	s_add_co_i32 s4, s4, s3
	s_mov_b32 s29, 0
	s_wait_kmcnt 0x0
	s_and_b32 s2, s2, 0xffff
	s_cmp_eq_u32 s5, 0
	s_cselect_b32 s3, ttmp9, s4
	s_delay_alu instid0(SALU_CYCLE_1) | instskip(SKIP_1) | instid1(VALU_DEP_1)
	v_mad_nc_u64_u32 v[2:3], s2, s3, v[0:1]
	s_mov_b32 s3, exec_lo
	v_cmpx_gt_i64_e64 s[20:21], v[2:3]
	s_cbranch_execz .LBB6_27
; %bb.1:
	s_clause 0x2
	s_load_b96 s[24:26], s[0:1], 0x10
	s_load_b256 s[4:11], s[0:1], 0x20
	s_load_b256 s[12:19], s[0:1], 0x40
	s_add_nc_u64 s[40:41], s[0:1], 0x68
	s_load_b64 s[30:31], s[0:1], 0x60
	s_wait_kmcnt 0x0
	s_mov_b32 s19, s29
	s_load_b32 s0, s[40:41], 0x0
	s_mov_b32 s35, s29
	s_mov_b32 s37, s29
	;; [unrolled: 1-line block ×8, first 2 shown]
	s_cvt_f32_u32 s36, s26
	s_wait_xcnt 0x0
	s_cvt_f32_u32 s40, s25
	s_cvt_f32_u32 s42, s24
	s_mul_i32 s1, s25, s26
	v_rcp_iflag_f32_e32 v0, s36
	v_rcp_iflag_f32_e32 v4, s40
	s_wait_kmcnt 0x0
	s_mul_i32 s36, s0, s2
	s_add_co_i32 s3, s6, -1
	v_rcp_iflag_f32_e32 v5, s42
	s_add_co_i32 s27, s5, -1
	s_mov_b32 s34, s6
	v_readfirstlane_b32 s0, v0
	v_readfirstlane_b32 s2, v4
	s_mul_i32 s6, s1, s24
	s_mul_i32 s1, s15, s3
	;; [unrolled: 1-line block ×3, first 2 shown]
	s_mul_f32 s0, s0, 0x4f7ffffe
	s_add_co_i32 s27, s1, 1
	s_cvt_f32_u32 s1, s6
	s_add_co_i32 s33, s4, -1
	s_mul_f32 s2, s2, 0x4f7ffffe
	s_cvt_u32_f32 s0, s0
	s_mul_i32 s60, s13, s33
	s_add_co_i32 s33, s3, 1
	v_readfirstlane_b32 s3, v5
	v_rcp_iflag_f32_e32 v0, s1
	s_sub_co_i32 s38, 0, s26
	s_cvt_u32_f32 s2, s2
	s_mul_i32 s38, s38, s0
	s_sub_co_i32 s41, 0, s25
	s_mul_f32 s1, s3, 0x4f7ffffe
	s_mul_hi_u32 s3, s0, s38
	s_mul_i32 s41, s41, s2
	s_add_co_i32 s38, s0, s3
	v_nop
	v_readfirstlane_b32 s0, v0
	s_mul_hi_u32 s40, s2, s41
	s_cvt_u32_f32 s1, s1
	s_add_co_i32 s40, s2, s40
	s_cvt_f32_u32 s2, s12
	s_mul_f32 s0, s0, 0x4f7ffffe
	s_sub_co_i32 s3, 0, s24
	s_sub_co_i32 s43, 0, s6
	v_rcp_iflag_f32_e32 v0, s2
	s_cvt_f32_u32 s2, s11
	s_mul_i32 s3, s3, s1
	s_cvt_u32_f32 s0, s0
	s_mul_hi_u32 s3, s1, s3
	v_rcp_iflag_f32_e32 v4, s2
	s_add_co_i32 s42, s1, s3
	s_mul_i32 s1, s43, s0
	v_nop
	v_readfirstlane_b32 s2, v0
	s_mul_hi_u32 s1, s0, s1
	s_cvt_f32_u32 s46, s13
	s_add_co_i32 s44, s0, s1
	s_cvt_f32_u32 s0, s10
	v_readfirstlane_b32 s3, v4
	s_mul_f32 s2, s2, 0x4f7ffffe
	s_cvt_f32_u32 s50, s15
	v_rcp_iflag_f32_e32 v0, s0
	s_mov_b32 s28, s5
	s_cvt_u32_f32 s1, s2
	s_mul_f32 s2, s3, 0x4f7ffffe
	s_sub_co_i32 s3, 0, s12
	v_rcp_iflag_f32_e32 v4, s50
	s_mul_i32 s3, s3, s1
	s_cvt_u32_f32 s0, s2
	v_readfirstlane_b32 s49, v0
	v_rcp_iflag_f32_e32 v0, s46
	s_sub_co_i32 s2, 0, s11
	s_mul_hi_u32 s3, s1, s3
	s_mul_i32 s2, s2, s0
	s_add_co_i32 s46, s1, s3
	s_mul_hi_u32 s1, s0, s2
	s_cvt_f32_u32 s2, s14
	s_add_co_i32 s48, s0, s1
	s_mul_f32 s0, s49, 0x4f7ffffe
	v_nop
	v_readfirstlane_b32 s1, v0
	v_rcp_iflag_f32_e32 v0, s2
	s_sub_co_i32 s3, 0, s10
	s_cvt_u32_f32 s0, s0
	s_mov_b32 s5, s17
	s_mul_f32 s1, s1, 0x4f7ffffe
	s_add_co_i32 s60, s60, 1
	s_mul_i32 s3, s3, s0
	v_nop
	v_readfirstlane_b32 s51, v0
	s_cvt_u32_f32 s1, s1
	s_mul_hi_u32 s2, s0, s3
	s_sub_co_i32 s3, 0, s13
	s_add_co_i32 s50, s0, s2
	v_readfirstlane_b32 s0, v4
	s_mul_i32 s3, s3, s1
	s_mov_b32 s41, s29
	s_mul_hi_u32 s2, s1, s3
	s_mul_f32 s3, s51, 0x4f7ffffe
	s_mul_f32 s0, s0, 0x4f7ffffe
	s_add_co_i32 s52, s1, s2
	s_sub_co_i32 s2, 0, s14
	s_cvt_u32_f32 s1, s3
	s_cvt_u32_f32 s0, s0
	s_sub_co_i32 s3, 0, s15
	s_mov_b32 s43, s29
	s_mul_i32 s2, s2, s1
	s_mul_i32 s3, s3, s0
	s_mul_hi_u32 s2, s1, s2
	s_mov_b32 s49, s29
	s_add_co_i32 s54, s1, s2
	s_mul_hi_u32 s1, s0, s3
	s_mov_b32 s51, s29
	s_add_co_i32 s56, s0, s1
	s_lshl_b64 s[58:59], s[18:19], 2
	s_branch .LBB6_4
.LBB6_2:                                ;   in Loop: Header=BB6_4 Depth=1
	s_or_b32 exec_lo, exec_lo, s62
.LBB6_3:                                ;   in Loop: Header=BB6_4 Depth=1
	s_delay_alu instid0(SALU_CYCLE_1) | instskip(SKIP_2) | instid1(VALU_DEP_2)
	s_or_b32 exec_lo, exec_lo, s61
	v_dual_mov_b32 v4, v1 :: v_dual_mov_b32 v5, v2
	v_add_nc_u64_e32 v[2:3], s[36:37], v[2:3]
	v_ashrrev_i64 v[4:5], 30, v[4:5]
	s_delay_alu instid0(VALU_DEP_2) | instskip(NEXT) | instid1(VALU_DEP_2)
	v_cmp_le_i64_e32 vcc_lo, s[20:21], v[2:3]
	v_add_nc_u64_e32 v[4:5], s[30:31], v[4:5]
	s_or_b32 s19, vcc_lo, s19
	global_store_b32 v[4:5], v7, off
	s_wait_xcnt 0x0
	s_and_not1_b32 exec_lo, exec_lo, s19
	s_cbranch_execz .LBB6_27
.LBB6_4:                                ; =>This Loop Header: Depth=1
                                        ;     Child Loop BB6_14 Depth 2
                                        ;       Child Loop BB6_18 Depth 3
                                        ;         Child Loop BB6_23 Depth 4
	v_mov_b32_e32 v0, v2
	s_mov_b32 s0, exec_lo
	s_delay_alu instid0(VALU_DEP_1) | instskip(NEXT) | instid1(VALU_DEP_1)
	v_mul_u64_e32 v[4:5], s[38:39], v[0:1]
	v_mul_lo_u32 v0, v5, s26
	s_delay_alu instid0(VALU_DEP_1) | instskip(NEXT) | instid1(VALU_DEP_1)
	v_dual_add_nc_u32 v4, 1, v5 :: v_dual_sub_nc_u32 v0, v2, v0
	v_subrev_nc_u32_e32 v6, s26, v0
	v_cmp_le_u32_e32 vcc_lo, s26, v0
	s_delay_alu instid0(VALU_DEP_2) | instskip(NEXT) | instid1(VALU_DEP_1)
	v_dual_cndmask_b32 v4, v5, v4, vcc_lo :: v_dual_cndmask_b32 v0, v0, v6, vcc_lo
	v_dual_mov_b32 v6, 0 :: v_dual_add_nc_u32 v5, 1, v4
	s_delay_alu instid0(VALU_DEP_2) | instskip(NEXT) | instid1(VALU_DEP_2)
	v_cmp_le_u32_e32 vcc_lo, s26, v0
	v_cndmask_b32_e32 v0, v4, v5, vcc_lo
	s_delay_alu instid0(VALU_DEP_1) | instskip(NEXT) | instid1(VALU_DEP_1)
	v_mul_lo_u32 v18, v0, s26
	v_sub_nc_u32_e32 v4, v2, v18
	s_delay_alu instid0(VALU_DEP_1) | instskip(NEXT) | instid1(VALU_DEP_1)
	v_dual_add_nc_u32 v14, s9, v4 :: v_dual_mov_b32 v4, 0
	v_cmpx_le_u32_e64 s27, v14
	s_cbranch_execz .LBB6_6
; %bb.5:                                ;   in Loop: Header=BB6_4 Depth=1
	v_subrev_nc_u32_e32 v6, s27, v14
	v_mov_b32_e32 v7, v1
	s_delay_alu instid0(VALU_DEP_1) | instskip(NEXT) | instid1(VALU_DEP_1)
	v_mul_u64_e32 v[8:9], s[46:47], v[6:7]
	v_mul_lo_u32 v5, v9, s12
	s_delay_alu instid0(VALU_DEP_1) | instskip(NEXT) | instid1(VALU_DEP_1)
	v_sub_nc_u32_e32 v5, v6, v5
	v_subrev_nc_u32_e32 v7, s12, v5
	v_cmp_le_u32_e32 vcc_lo, s12, v5
	s_delay_alu instid0(VALU_DEP_2) | instskip(NEXT) | instid1(VALU_DEP_1)
	v_dual_cndmask_b32 v5, v5, v7 :: v_dual_add_nc_u32 v6, 1, v9
	v_cndmask_b32_e32 v6, v9, v6, vcc_lo
	s_delay_alu instid0(VALU_DEP_2) | instskip(NEXT) | instid1(VALU_DEP_2)
	v_cmp_le_u32_e32 vcc_lo, s12, v5
	v_add_nc_u32_e32 v7, 1, v6
	s_delay_alu instid0(VALU_DEP_1) | instskip(NEXT) | instid1(VALU_DEP_1)
	v_cndmask_b32_e32 v5, v6, v7, vcc_lo
	v_add_nc_u32_e32 v6, 1, v5
.LBB6_6:                                ;   in Loop: Header=BB6_4 Depth=1
	s_or_b32 exec_lo, exec_lo, s0
	v_mul_u64_e32 v[8:9], s[40:41], v[0:1]
	s_mov_b32 s0, exec_lo
	v_mov_b32_e32 v10, 0
	s_delay_alu instid0(VALU_DEP_2) | instskip(SKIP_1) | instid1(VALU_DEP_2)
	v_mul_lo_u32 v5, v9, s25
	v_add_nc_u32_e32 v7, 1, v9
	v_sub_nc_u32_e32 v5, v0, v5
	s_delay_alu instid0(VALU_DEP_1) | instskip(NEXT) | instid1(VALU_DEP_3)
	v_cmp_le_u32_e32 vcc_lo, s25, v5
	v_cndmask_b32_e32 v7, v9, v7, vcc_lo
	v_subrev_nc_u32_e32 v8, s25, v5
	s_delay_alu instid0(VALU_DEP_1) | instskip(NEXT) | instid1(VALU_DEP_1)
	v_dual_cndmask_b32 v5, v5, v8 :: v_dual_add_nc_u32 v8, 1, v7
	v_cmp_le_u32_e32 vcc_lo, s25, v5
	s_delay_alu instid0(VALU_DEP_2) | instskip(NEXT) | instid1(VALU_DEP_1)
	v_cndmask_b32_e32 v12, v7, v8, vcc_lo
	v_mul_lo_u32 v5, v12, s25
	s_delay_alu instid0(VALU_DEP_1) | instskip(NEXT) | instid1(VALU_DEP_1)
	v_sub_nc_u32_e32 v0, v0, v5
	v_add_nc_u32_e32 v8, s8, v0
	s_delay_alu instid0(VALU_DEP_1)
	v_cmpx_le_u32_e64 s33, v8
	s_cbranch_execz .LBB6_8
; %bb.7:                                ;   in Loop: Header=BB6_4 Depth=1
	v_subrev_nc_u32_e32 v0, s33, v8
	s_delay_alu instid0(VALU_DEP_1) | instskip(NEXT) | instid1(VALU_DEP_1)
	v_mul_u64_e32 v[10:11], s[48:49], v[0:1]
	v_mul_lo_u32 v5, v11, s11
	s_delay_alu instid0(VALU_DEP_1) | instskip(NEXT) | instid1(VALU_DEP_1)
	v_dual_sub_nc_u32 v0, v0, v5 :: v_dual_add_nc_u32 v5, 1, v11
	v_subrev_nc_u32_e32 v7, s11, v0
	v_cmp_le_u32_e32 vcc_lo, s11, v0
	s_delay_alu instid0(VALU_DEP_2) | instskip(NEXT) | instid1(VALU_DEP_1)
	v_dual_cndmask_b32 v5, v11, v5 :: v_dual_cndmask_b32 v0, v0, v7
	v_add_nc_u32_e32 v7, 1, v5
	s_delay_alu instid0(VALU_DEP_2) | instskip(NEXT) | instid1(VALU_DEP_2)
	v_cmp_le_u32_e32 vcc_lo, s11, v0
	v_cndmask_b32_e32 v0, v5, v7, vcc_lo
	s_delay_alu instid0(VALU_DEP_1)
	v_add_nc_u32_e32 v10, 1, v0
.LBB6_8:                                ;   in Loop: Header=BB6_4 Depth=1
	s_or_b32 exec_lo, exec_lo, s0
	v_mov_b32_e32 v13, v1
	s_mov_b32 s0, exec_lo
	s_delay_alu instid0(VALU_DEP_1) | instskip(NEXT) | instid1(VALU_DEP_1)
	v_mul_u64_e32 v[16:17], s[42:43], v[12:13]
	v_mul_lo_u32 v0, v17, s24
	s_delay_alu instid0(VALU_DEP_1) | instskip(NEXT) | instid1(VALU_DEP_1)
	v_sub_nc_u32_e32 v0, v12, v0
	v_subrev_nc_u32_e32 v5, s24, v0
	v_cmp_le_u32_e32 vcc_lo, s24, v0
	s_delay_alu instid0(VALU_DEP_2) | instskip(NEXT) | instid1(VALU_DEP_1)
	v_cndmask_b32_e32 v0, v0, v5, vcc_lo
	v_subrev_nc_u32_e32 v5, s24, v0
	v_cmp_le_u32_e32 vcc_lo, s24, v0
	s_delay_alu instid0(VALU_DEP_2) | instskip(NEXT) | instid1(VALU_DEP_1)
	v_cndmask_b32_e32 v0, v0, v5, vcc_lo
	v_add_nc_u32_e32 v12, s7, v0
	s_delay_alu instid0(VALU_DEP_1)
	v_cmpx_le_u32_e64 s60, v12
	s_cbranch_execz .LBB6_10
; %bb.9:                                ;   in Loop: Header=BB6_4 Depth=1
	v_subrev_nc_u32_e32 v0, s60, v12
	s_delay_alu instid0(VALU_DEP_1) | instskip(NEXT) | instid1(VALU_DEP_1)
	v_mul_u64_e32 v[4:5], s[50:51], v[0:1]
	v_mul_lo_u32 v4, v5, s10
	s_delay_alu instid0(VALU_DEP_1) | instskip(NEXT) | instid1(VALU_DEP_1)
	v_dual_sub_nc_u32 v0, v0, v4 :: v_dual_add_nc_u32 v4, 1, v5
	v_subrev_nc_u32_e32 v7, s10, v0
	v_cmp_le_u32_e32 vcc_lo, s10, v0
	s_delay_alu instid0(VALU_DEP_2) | instskip(NEXT) | instid1(VALU_DEP_1)
	v_dual_cndmask_b32 v4, v5, v4, vcc_lo :: v_dual_cndmask_b32 v0, v0, v7, vcc_lo
	v_add_nc_u32_e32 v5, 1, v4
	s_delay_alu instid0(VALU_DEP_2) | instskip(NEXT) | instid1(VALU_DEP_2)
	v_cmp_le_u32_e32 vcc_lo, s10, v0
	v_cndmask_b32_e32 v0, v4, v5, vcc_lo
	s_delay_alu instid0(VALU_DEP_1)
	v_add_nc_u32_e32 v4, 1, v0
.LBB6_10:                               ;   in Loop: Header=BB6_4 Depth=1
	s_or_b32 exec_lo, exec_lo, s0
	v_mov_b32_e32 v13, v1
	s_mov_b32 s61, exec_lo
	s_delay_alu instid0(VALU_DEP_1) | instskip(NEXT) | instid1(VALU_DEP_1)
	v_mul_u64_e32 v[16:17], s[50:51], v[12:13]
	v_mul_lo_u32 v0, v17, s10
	s_delay_alu instid0(VALU_DEP_1) | instskip(NEXT) | instid1(VALU_DEP_1)
	v_sub_nc_u32_e32 v0, v12, v0
	v_subrev_nc_u32_e32 v7, s10, v0
	v_cmp_le_u32_e32 vcc_lo, s10, v0
	s_delay_alu instid0(VALU_DEP_2) | instskip(NEXT) | instid1(VALU_DEP_1)
	v_dual_cndmask_b32 v0, v0, v7 :: v_dual_add_nc_u32 v5, 1, v17
	v_cndmask_b32_e32 v5, v17, v5, vcc_lo
	s_delay_alu instid0(VALU_DEP_2) | instskip(NEXT) | instid1(VALU_DEP_2)
	v_cmp_le_u32_e32 vcc_lo, s10, v0
	v_add_nc_u32_e32 v7, 1, v5
	s_delay_alu instid0(VALU_DEP_1) | instskip(NEXT) | instid1(VALU_DEP_1)
	v_dual_cndmask_b32 v0, v5, v7 :: v_dual_mov_b32 v7, 0
	v_add_min_u32_e64 v13, v0, 1, s16
	s_delay_alu instid0(VALU_DEP_1)
	v_cmpx_lt_u32_e64 v4, v13
	s_cbranch_execz .LBB6_3
; %bb.11:                               ;   in Loop: Header=BB6_4 Depth=1
	v_dual_mov_b32 v9, v1 :: v_dual_mov_b32 v15, v1
	v_dual_mov_b32 v0, v2 :: v_dual_mov_b32 v11, v1
	s_mov_b32 s62, 0
	s_delay_alu instid0(VALU_DEP_2) | instskip(NEXT) | instid1(VALU_DEP_3)
	v_mul_u64_e32 v[16:17], s[48:49], v[8:9]
	v_mul_u64_e32 v[20:21], s[46:47], v[14:15]
	s_delay_alu instid0(VALU_DEP_3)
	v_mul_u64_e32 v[22:23], s[44:45], v[0:1]
	v_add_nc_u32_e32 v9, s9, v2
	v_mul_lo_u32 v16, s12, v6
	v_mul_lo_u32 v0, v17, s11
	;; [unrolled: 1-line block ×4, first 2 shown]
	v_dual_add_nc_u32 v22, 1, v23 :: v_dual_add_nc_u32 v19, 1, v17
	s_delay_alu instid0(VALU_DEP_4) | instskip(NEXT) | instid1(VALU_DEP_4)
	v_dual_add_nc_u32 v20, 1, v21 :: v_dual_sub_nc_u32 v0, v8, v0
	v_sub_nc_u32_e32 v5, v14, v5
	s_delay_alu instid0(VALU_DEP_2) | instskip(NEXT) | instid1(VALU_DEP_2)
	v_cmp_le_u32_e32 vcc_lo, s11, v0
	v_cmp_le_u32_e64 s0, s12, v5
	v_sub_nc_u32_e32 v7, v2, v7
	v_cndmask_b32_e32 v14, v17, v19, vcc_lo
	v_subrev_nc_u32_e32 v17, s11, v0
	s_delay_alu instid0(VALU_DEP_4) | instskip(NEXT) | instid1(VALU_DEP_4)
	v_cndmask_b32_e64 v19, v21, v20, s0
	v_cmp_le_u32_e64 s1, s6, v7
	v_subrev_nc_u32_e32 v20, s12, v5
	s_delay_alu instid0(VALU_DEP_2) | instskip(SKIP_2) | instid1(VALU_DEP_4)
	v_dual_cndmask_b32 v21, v23, v22, s1 :: v_dual_cndmask_b32 v0, v0, v17, vcc_lo
	v_add_nc_u32_e32 v17, 1, v14
	v_subrev_nc_u32_e32 v22, s6, v7
	v_dual_cndmask_b32 v5, v5, v20, s0 :: v_dual_add_nc_u32 v20, 1, v19
	s_delay_alu instid0(VALU_DEP_4) | instskip(NEXT) | instid1(VALU_DEP_3)
	v_cmp_le_u32_e32 vcc_lo, s11, v0
	v_dual_cndmask_b32 v7, v7, v22, s1 :: v_dual_add_nc_u32 v22, 1, v21
	v_cndmask_b32_e32 v0, v14, v17, vcc_lo
	s_delay_alu instid0(VALU_DEP_4) | instskip(SKIP_1) | instid1(VALU_DEP_4)
	v_cmp_le_u32_e32 vcc_lo, s12, v5
	v_cndmask_b32_e32 v5, v19, v20, vcc_lo
	v_cmp_le_u32_e32 vcc_lo, s6, v7
	v_mov_b32_e32 v7, v1
	v_sub_nc_u32_e32 v19, v9, v16
	v_add_min_u32_e64 v9, v0, 1, s17
	v_add_min_u32_e64 v28, v5, 1, s18
	v_cndmask_b32_e32 v14, v21, v22, vcc_lo
	v_mov_b32_e32 v5, v1
	v_lshl_add_u64 v[16:17], v[6:7], 2, s[22:23]
	v_mov_b32_e32 v7, 0
	v_cmp_lt_u32_e64 s0, v6, v28
	v_mul_lo_u32 v14, v14, s4
	v_sub_nc_u32_e32 v29, v19, v18
	v_cmp_lt_u32_e32 vcc_lo, v10, v9
	s_branch .LBB6_14
.LBB6_12:                               ;   in Loop: Header=BB6_14 Depth=2
	s_or_b32 exec_lo, exec_lo, s64
.LBB6_13:                               ;   in Loop: Header=BB6_14 Depth=2
	s_delay_alu instid0(SALU_CYCLE_1) | instskip(SKIP_1) | instid1(VALU_DEP_1)
	s_or_b32 exec_lo, exec_lo, s63
	v_add_nc_u64_e32 v[4:5], 1, v[4:5]
	v_cmp_ge_u32_e64 s1, v4, v13
	s_or_b32 s62, s1, s62
	s_delay_alu instid0(SALU_CYCLE_1)
	s_and_not1_b32 exec_lo, exec_lo, s62
	s_cbranch_execz .LBB6_2
.LBB6_14:                               ;   Parent Loop BB6_4 Depth=1
                                        ; =>  This Loop Header: Depth=2
                                        ;       Child Loop BB6_18 Depth 3
                                        ;         Child Loop BB6_23 Depth 4
	s_and_saveexec_b32 s63, vcc_lo
	s_cbranch_execz .LBB6_13
; %bb.15:                               ;   in Loop: Header=BB6_14 Depth=2
	v_mul_lo_u32 v0, v4, s10
	s_mov_b32 s64, 0
	s_delay_alu instid0(VALU_DEP_1) | instskip(NEXT) | instid1(VALU_DEP_1)
	v_sub_nc_u32_e32 v0, v12, v0
	v_mul_u64_e32 v[18:19], s[52:53], v[0:1]
	s_delay_alu instid0(VALU_DEP_1) | instskip(NEXT) | instid1(VALU_DEP_1)
	v_mul_lo_u32 v18, v19, s13
	v_dual_add_nc_u32 v20, 1, v19 :: v_dual_sub_nc_u32 v18, v0, v18
	s_delay_alu instid0(VALU_DEP_1) | instskip(NEXT) | instid1(VALU_DEP_1)
	v_cmp_le_u32_e64 s1, s13, v18
	v_cndmask_b32_e64 v19, v19, v20, s1
	v_subrev_nc_u32_e32 v21, s13, v18
	s_delay_alu instid0(VALU_DEP_1) | instskip(SKIP_1) | instid1(VALU_DEP_2)
	v_dual_add_nc_u32 v20, 1, v19 :: v_dual_cndmask_b32 v18, v18, v21, s1
	v_mov_b32_e32 v21, v1
	v_cmp_le_u32_e64 s1, s13, v18
	s_delay_alu instid0(VALU_DEP_1) | instskip(NEXT) | instid1(VALU_DEP_1)
	v_cndmask_b32_e64 v20, v19, v20, s1
	v_add_nc_u64_e32 v[18:19], v[20:21], v[14:15]
	v_mul_lo_u32 v20, v20, s13
	s_delay_alu instid0(VALU_DEP_2) | instskip(NEXT) | instid1(VALU_DEP_2)
	v_mul_u64_e32 v[18:19], s[28:29], v[18:19]
	v_sub_nc_u32_e32 v0, v0, v20
	v_mov_b64_e32 v[20:21], v[10:11]
	s_delay_alu instid0(VALU_DEP_2)
	v_cmp_eq_u32_e64 s1, 0, v0
	s_branch .LBB6_18
.LBB6_16:                               ;   in Loop: Header=BB6_18 Depth=3
	s_or_b32 exec_lo, exec_lo, s66
.LBB6_17:                               ;   in Loop: Header=BB6_18 Depth=3
	s_delay_alu instid0(SALU_CYCLE_1) | instskip(NEXT) | instid1(VALU_DEP_2)
	s_or_b32 exec_lo, exec_lo, s65
	v_add_nc_u64_e32 v[20:21], 1, v[20:21]
	s_delay_alu instid0(VALU_DEP_1) | instskip(SKIP_1) | instid1(SALU_CYCLE_1)
	v_cmp_ge_u32_e64 s2, v20, v9
	s_or_b32 s64, s2, s64
	s_and_not1_b32 exec_lo, exec_lo, s64
	s_cbranch_execz .LBB6_12
.LBB6_18:                               ;   Parent Loop BB6_4 Depth=1
                                        ;     Parent Loop BB6_14 Depth=2
                                        ; =>    This Loop Header: Depth=3
                                        ;         Child Loop BB6_23 Depth 4
	s_and_saveexec_b32 s65, s0
	s_cbranch_execz .LBB6_17
; %bb.19:                               ;   in Loop: Header=BB6_18 Depth=3
	s_delay_alu instid0(VALU_DEP_2) | instskip(SKIP_1) | instid1(VALU_DEP_1)
	v_mul_lo_u32 v0, v20, s11
	s_mov_b32 s66, 0
	v_dual_mov_b32 v30, v6 :: v_dual_sub_nc_u32 v0, v8, v0
	s_delay_alu instid0(VALU_DEP_1) | instskip(NEXT) | instid1(VALU_DEP_1)
	v_mul_u64_e32 v[22:23], s[54:55], v[0:1]
	v_mul_lo_u32 v22, v23, s14
	s_delay_alu instid0(VALU_DEP_1) | instskip(NEXT) | instid1(VALU_DEP_1)
	v_dual_add_nc_u32 v24, 1, v23 :: v_dual_sub_nc_u32 v22, v0, v22
	v_cmp_le_u32_e64 s2, s14, v22
	s_delay_alu instid0(VALU_DEP_1) | instskip(SKIP_1) | instid1(VALU_DEP_1)
	v_cndmask_b32_e64 v23, v23, v24, s2
	v_subrev_nc_u32_e32 v25, s14, v22
	v_dual_add_nc_u32 v24, 1, v23 :: v_dual_cndmask_b32 v22, v22, v25, s2
	v_mov_b32_e32 v25, v1
	s_delay_alu instid0(VALU_DEP_2) | instskip(NEXT) | instid1(VALU_DEP_1)
	v_cmp_le_u32_e64 s2, s14, v22
	v_cndmask_b32_e64 v24, v23, v24, s2
	s_delay_alu instid0(VALU_DEP_1) | instskip(SKIP_1) | instid1(VALU_DEP_2)
	v_add_nc_u64_e32 v[22:23], v[18:19], v[24:25]
	v_mul_lo_u32 v24, v24, s14
	v_mul_u64_e32 v[22:23], s[34:35], v[22:23]
	s_delay_alu instid0(VALU_DEP_2) | instskip(SKIP_1) | instid1(VALU_DEP_2)
	v_sub_nc_u32_e32 v0, v0, v24
	v_mov_b64_e32 v[24:25], v[16:17]
	v_cmp_eq_u32_e64 s2, 0, v0
	v_mov_b32_e32 v0, v29
	s_branch .LBB6_23
.LBB6_20:                               ;   in Loop: Header=BB6_23 Depth=4
	s_wait_xcnt 0x0
	s_or_b32 exec_lo, exec_lo, s69
.LBB6_21:                               ;   in Loop: Header=BB6_23 Depth=4
	s_delay_alu instid0(SALU_CYCLE_1)
	s_or_b32 exec_lo, exec_lo, s68
.LBB6_22:                               ;   in Loop: Header=BB6_23 Depth=4
	s_delay_alu instid0(SALU_CYCLE_1) | instskip(SKIP_3) | instid1(VALU_DEP_3)
	s_or_b32 exec_lo, exec_lo, s67
	v_add_nc_u32_e32 v30, 1, v30
	v_add_nc_u64_e32 v[24:25], 4, v[24:25]
	v_subrev_nc_u32_e32 v0, s12, v0
	v_cmp_ge_u32_e64 s3, v30, v28
	s_or_b32 s66, s3, s66
	s_delay_alu instid0(SALU_CYCLE_1)
	s_and_not1_b32 exec_lo, exec_lo, s66
	s_cbranch_execz .LBB6_16
.LBB6_23:                               ;   Parent Loop BB6_4 Depth=1
                                        ;     Parent Loop BB6_14 Depth=2
                                        ;       Parent Loop BB6_18 Depth=3
                                        ; =>      This Inner Loop Header: Depth=4
	s_and_saveexec_b32 s67, s1
	s_cbranch_execz .LBB6_22
; %bb.24:                               ;   in Loop: Header=BB6_23 Depth=4
	s_and_saveexec_b32 s68, s2
	s_cbranch_execz .LBB6_21
; %bb.25:                               ;   in Loop: Header=BB6_23 Depth=4
	v_mul_u64_e32 v[26:27], s[56:57], v[0:1]
	s_mov_b32 s69, exec_lo
	s_delay_alu instid0(VALU_DEP_1) | instskip(NEXT) | instid1(VALU_DEP_1)
	v_mul_lo_u32 v26, v27, s15
	v_dual_add_nc_u32 v31, 1, v27 :: v_dual_sub_nc_u32 v26, v0, v26
	s_delay_alu instid0(VALU_DEP_1) | instskip(SKIP_1) | instid1(VALU_DEP_1)
	v_subrev_nc_u32_e32 v32, s15, v26
	v_cmp_le_u32_e64 s3, s15, v26
	v_dual_cndmask_b32 v27, v27, v31, s3 :: v_dual_cndmask_b32 v26, v26, v32, s3
	s_delay_alu instid0(VALU_DEP_1) | instskip(NEXT) | instid1(VALU_DEP_2)
	v_add_nc_u32_e32 v31, 1, v27
	v_cmp_le_u32_e64 s3, s15, v26
	s_delay_alu instid0(VALU_DEP_1) | instskip(NEXT) | instid1(VALU_DEP_1)
	v_cndmask_b32_e64 v26, v27, v31, s3
	v_mul_lo_u32 v27, v26, s15
	s_delay_alu instid0(VALU_DEP_1) | instskip(NEXT) | instid1(VALU_DEP_1)
	v_sub_nc_u32_e32 v27, v0, v27
	v_cmpx_eq_u32_e32 0, v27
	s_cbranch_execz .LBB6_20
; %bb.26:                               ;   in Loop: Header=BB6_23 Depth=4
	v_mov_b32_e32 v27, v1
	s_delay_alu instid0(VALU_DEP_1) | instskip(NEXT) | instid1(VALU_DEP_1)
	v_add_nc_u64_e32 v[26:27], v[22:23], v[26:27]
	v_mad_nc_u64_u32 v[32:33], v26, s16, v[4:5]
	s_delay_alu instid0(VALU_DEP_1) | instskip(NEXT) | instid1(VALU_DEP_2)
	v_mad_nc_u64_u32 v[34:35], s5, v32, v[20:21]
	v_mad_u32 v31, v27, s16, v33
	s_delay_alu instid0(VALU_DEP_2) | instskip(NEXT) | instid1(VALU_DEP_2)
	v_mad_nc_u64_u32 v[26:27], s58, v34, v[24:25]
	v_mad_u32 v31, s5, v31, v35
	s_delay_alu instid0(VALU_DEP_2) | instskip(NEXT) | instid1(VALU_DEP_1)
	v_mad_u32 v27, s59, v34, v27
	v_mad_u32 v27, s58, v31, v27
	global_load_b32 v26, v[26:27], off
	s_wait_loadcnt 0x0
	v_add_f32_e32 v7, v7, v26
	s_branch .LBB6_20
.LBB6_27:
	s_endpgm
	.section	.rodata,"a",@progbits
	.p2align	6, 0x0
	.amdhsa_kernel _ZN2at6native13vol2im_kernelIffEEvlPKT_jjjjjjjjjjjjjjjjjjjPS2_
		.amdhsa_group_segment_fixed_size 0
		.amdhsa_private_segment_fixed_size 0
		.amdhsa_kernarg_size 360
		.amdhsa_user_sgpr_count 2
		.amdhsa_user_sgpr_dispatch_ptr 0
		.amdhsa_user_sgpr_queue_ptr 0
		.amdhsa_user_sgpr_kernarg_segment_ptr 1
		.amdhsa_user_sgpr_dispatch_id 0
		.amdhsa_user_sgpr_kernarg_preload_length 0
		.amdhsa_user_sgpr_kernarg_preload_offset 0
		.amdhsa_user_sgpr_private_segment_size 0
		.amdhsa_wavefront_size32 1
		.amdhsa_uses_dynamic_stack 0
		.amdhsa_enable_private_segment 0
		.amdhsa_system_sgpr_workgroup_id_x 1
		.amdhsa_system_sgpr_workgroup_id_y 0
		.amdhsa_system_sgpr_workgroup_id_z 0
		.amdhsa_system_sgpr_workgroup_info 0
		.amdhsa_system_vgpr_workitem_id 0
		.amdhsa_next_free_vgpr 36
		.amdhsa_next_free_sgpr 70
		.amdhsa_named_barrier_count 0
		.amdhsa_reserve_vcc 1
		.amdhsa_float_round_mode_32 0
		.amdhsa_float_round_mode_16_64 0
		.amdhsa_float_denorm_mode_32 3
		.amdhsa_float_denorm_mode_16_64 3
		.amdhsa_fp16_overflow 0
		.amdhsa_memory_ordered 1
		.amdhsa_forward_progress 1
		.amdhsa_inst_pref_size 20
		.amdhsa_round_robin_scheduling 0
		.amdhsa_exception_fp_ieee_invalid_op 0
		.amdhsa_exception_fp_denorm_src 0
		.amdhsa_exception_fp_ieee_div_zero 0
		.amdhsa_exception_fp_ieee_overflow 0
		.amdhsa_exception_fp_ieee_underflow 0
		.amdhsa_exception_fp_ieee_inexact 0
		.amdhsa_exception_int_div_zero 0
	.end_amdhsa_kernel
	.section	.text._ZN2at6native13vol2im_kernelIffEEvlPKT_jjjjjjjjjjjjjjjjjjjPS2_,"axG",@progbits,_ZN2at6native13vol2im_kernelIffEEvlPKT_jjjjjjjjjjjjjjjjjjjPS2_,comdat
.Lfunc_end6:
	.size	_ZN2at6native13vol2im_kernelIffEEvlPKT_jjjjjjjjjjjjjjjjjjjPS2_, .Lfunc_end6-_ZN2at6native13vol2im_kernelIffEEvlPKT_jjjjjjjjjjjjjjjjjjjPS2_
                                        ; -- End function
	.set _ZN2at6native13vol2im_kernelIffEEvlPKT_jjjjjjjjjjjjjjjjjjjPS2_.num_vgpr, 36
	.set _ZN2at6native13vol2im_kernelIffEEvlPKT_jjjjjjjjjjjjjjjjjjjPS2_.num_agpr, 0
	.set _ZN2at6native13vol2im_kernelIffEEvlPKT_jjjjjjjjjjjjjjjjjjjPS2_.numbered_sgpr, 70
	.set _ZN2at6native13vol2im_kernelIffEEvlPKT_jjjjjjjjjjjjjjjjjjjPS2_.num_named_barrier, 0
	.set _ZN2at6native13vol2im_kernelIffEEvlPKT_jjjjjjjjjjjjjjjjjjjPS2_.private_seg_size, 0
	.set _ZN2at6native13vol2im_kernelIffEEvlPKT_jjjjjjjjjjjjjjjjjjjPS2_.uses_vcc, 1
	.set _ZN2at6native13vol2im_kernelIffEEvlPKT_jjjjjjjjjjjjjjjjjjjPS2_.uses_flat_scratch, 0
	.set _ZN2at6native13vol2im_kernelIffEEvlPKT_jjjjjjjjjjjjjjjjjjjPS2_.has_dyn_sized_stack, 0
	.set _ZN2at6native13vol2im_kernelIffEEvlPKT_jjjjjjjjjjjjjjjjjjjPS2_.has_recursion, 0
	.set _ZN2at6native13vol2im_kernelIffEEvlPKT_jjjjjjjjjjjjjjjjjjjPS2_.has_indirect_call, 0
	.section	.AMDGPU.csdata,"",@progbits
; Kernel info:
; codeLenInByte = 2484
; TotalNumSgprs: 72
; NumVgprs: 36
; ScratchSize: 0
; MemoryBound: 0
; FloatMode: 240
; IeeeMode: 1
; LDSByteSize: 0 bytes/workgroup (compile time only)
; SGPRBlocks: 0
; VGPRBlocks: 2
; NumSGPRsForWavesPerEU: 72
; NumVGPRsForWavesPerEU: 36
; NamedBarCnt: 0
; Occupancy: 16
; WaveLimiterHint : 0
; COMPUTE_PGM_RSRC2:SCRATCH_EN: 0
; COMPUTE_PGM_RSRC2:USER_SGPR: 2
; COMPUTE_PGM_RSRC2:TRAP_HANDLER: 0
; COMPUTE_PGM_RSRC2:TGID_X_EN: 1
; COMPUTE_PGM_RSRC2:TGID_Y_EN: 0
; COMPUTE_PGM_RSRC2:TGID_Z_EN: 0
; COMPUTE_PGM_RSRC2:TIDIG_COMP_CNT: 0
	.section	.text._ZN2at6native13col2im_kernelIffEEvlPKT_llllllllllllPS2_,"axG",@progbits,_ZN2at6native13col2im_kernelIffEEvlPKT_llllllllllllPS2_,comdat
	.protected	_ZN2at6native13col2im_kernelIffEEvlPKT_llllllllllllPS2_ ; -- Begin function _ZN2at6native13col2im_kernelIffEEvlPKT_llllllllllllPS2_
	.globl	_ZN2at6native13col2im_kernelIffEEvlPKT_llllllllllllPS2_
	.p2align	8
	.type	_ZN2at6native13col2im_kernelIffEEvlPKT_llllllllllllPS2_,@function
_ZN2at6native13col2im_kernelIffEEvlPKT_llllllllllllPS2_: ; @_ZN2at6native13col2im_kernelIffEEvlPKT_llllllllllllPS2_
; %bb.0:
	s_load_b32 s2, s[0:1], 0x84
	s_bfe_u32 s4, ttmp6, 0x4000c
	v_mov_b32_e32 v2, 0
	s_add_co_i32 s21, s4, 1
	s_load_b512 s[4:19], s[0:1], 0x0
	s_and_b32 s3, ttmp6, 15
	s_mul_i32 s21, ttmp9, s21
	s_getreg_b32 s20, hwreg(HW_REG_IB_STS2, 6, 4)
	v_mov_b32_e32 v1, v2
	s_add_co_i32 s3, s3, s21
	s_wait_kmcnt 0x0
	s_and_b32 s2, s2, 0xffff
	s_cmp_eq_u32 s20, 0
	s_mov_b32 s20, exec_lo
	s_cselect_b32 s3, ttmp9, s3
	s_delay_alu instid0(SALU_CYCLE_1) | instskip(SKIP_1) | instid1(VALU_DEP_1)
	v_mad_nc_u64_u32 v[0:1], s2, s3, v[0:1]
	s_mov_b32 s3, 0
	v_cmpx_gt_i64_e64 s[4:5], v[0:1]
	s_cbranch_execz .LBB7_55
; %bb.1:
	s_clause 0x1
	s_load_b256 s[20:27], s[0:1], 0x40
	s_load_b256 s[36:43], s[0:1], 0x60
	s_wait_xcnt 0x0
	s_add_nc_u64 s[0:1], s[0:1], 0x78
	v_cvt_f32_u32_e32 v3, s10
	s_load_b32 s30, s[0:1], 0x0
	s_wait_xcnt 0x0
	s_add_nc_u64 s[0:1], s[14:15], -1
	s_add_nc_u64 s[46:47], s[12:13], -1
	s_mul_u64 s[28:29], s[10:11], s[8:9]
	v_rcp_iflag_f32_e32 v3, v3
	s_mov_b32 s31, s3
	s_mov_b64 s[34:35], 0xffffffff
	s_wait_kmcnt 0x0
	s_ashr_i32 s42, s11, 31
	s_mov_b32 s33, 0
	v_nop
	v_mul_f32_e32 v3, 0x4f7ffffe, v3
	s_delay_alu instid0(VALU_DEP_1)
	v_cvt_u32_f32_e32 v32, v3
	s_mul_u64 s[44:45], s[26:27], s[0:1]
	s_mul_u64 s[46:47], s[24:25], s[46:47]
	s_lshl_b64 s[48:49], s[38:39], 2
	s_not_b64 s[50:51], s[46:47]
	s_not_b64 s[52:53], s[44:45]
	s_mul_i32 s30, s30, s2
	s_branch .LBB7_4
.LBB7_2:                                ;   in Loop: Header=BB7_4 Depth=1
	s_or_b32 exec_lo, exec_lo, s58
.LBB7_3:                                ;   in Loop: Header=BB7_4 Depth=1
	s_delay_alu instid0(SALU_CYCLE_1)
	s_or_b32 exec_lo, exec_lo, s43
	v_add_nc_u64_e32 v[0:1], s[30:31], v[0:1]
	v_lshl_add_u64 v[4:5], v[4:5], 2, s[40:41]
	global_store_b32 v[4:5], v33, off
	v_cmp_le_i64_e32 vcc_lo, s[4:5], v[0:1]
	s_or_b32 s33, vcc_lo, s33
	s_wait_xcnt 0x0
	s_and_not1_b32 exec_lo, exec_lo, s33
	s_cbranch_execz .LBB7_55
.LBB7_4:                                ; =>This Loop Header: Depth=1
                                        ;     Child Loop BB7_40 Depth 2
                                        ;       Child Loop BB7_48 Depth 3
	v_dual_mov_b32 v4, v0 :: v_dual_ashrrev_i32 v5, 31, v0
                                        ; implicit-def: $vgpr12_vgpr13
	s_mov_b32 s0, exec_lo
	s_delay_alu instid0(VALU_DEP_1) | instskip(NEXT) | instid1(VALU_DEP_1)
	v_dual_ashrrev_i32 v6, 31, v5 :: v_dual_bitop2_b32 v3, s11, v5 bitop3:0x54
	v_cmpx_ne_u64_e32 0, v[2:3]
	s_xor_b32 s1, exec_lo, s0
	s_cbranch_execz .LBB7_6
; %bb.5:                                ;   in Loop: Header=BB7_4 Depth=1
	s_mov_b32 s43, s42
	v_dual_mov_b32 v7, v6 :: v_dual_mov_b32 v11, v2
	s_add_nc_u64 s[54:55], s[10:11], s[42:43]
	v_mov_b32_e32 v15, v2
	s_xor_b64 s[54:55], s[54:55], s[42:43]
	s_delay_alu instid0(VALU_DEP_2) | instskip(SKIP_4) | instid1(SALU_CYCLE_1)
	v_add_nc_u64_e32 v[8:9], v[4:5], v[6:7]
	s_cvt_f32_u32 s0, s54
	s_cvt_f32_u32 s2, s55
	s_sub_nc_u64 s[58:59], 0, s[54:55]
	v_mov_b32_e32 v19, v2
	s_fmamk_f32 s0, s2, 0x4f800000, s0
	s_delay_alu instid0(VALU_DEP_2) | instskip(SKIP_1) | instid1(SALU_CYCLE_1)
	v_xor_b32_e32 v10, v8, v6
	v_xor_b32_e32 v14, v9, v6
	v_s_rcp_f32 s0, s0
	s_delay_alu instid0(TRANS32_DEP_1) | instskip(NEXT) | instid1(SALU_CYCLE_3)
	s_mul_f32 s0, s0, 0x5f7ffffc
	s_mul_f32 s2, s0, 0x2f800000
	s_delay_alu instid0(SALU_CYCLE_3) | instskip(NEXT) | instid1(SALU_CYCLE_3)
	s_trunc_f32 s2, s2
	s_fmamk_f32 s0, s2, 0xcf800000, s0
	s_cvt_u32_f32 s57, s2
	s_delay_alu instid0(SALU_CYCLE_2) | instskip(NEXT) | instid1(SALU_CYCLE_3)
	s_cvt_u32_f32 s56, s0
	s_mul_u64 s[60:61], s[58:59], s[56:57]
	s_delay_alu instid0(SALU_CYCLE_1)
	s_mul_hi_u32 s63, s56, s61
	s_mul_i32 s62, s56, s61
	s_mul_hi_u32 s2, s56, s60
	s_mul_i32 s43, s57, s60
	s_add_nc_u64 s[62:63], s[2:3], s[62:63]
	s_mul_hi_u32 s0, s57, s60
	s_mul_hi_u32 s64, s57, s61
	s_add_co_u32 s2, s62, s43
	s_add_co_ci_u32 s2, s63, s0
	s_mul_i32 s60, s57, s61
	s_add_co_ci_u32 s61, s64, 0
	s_delay_alu instid0(SALU_CYCLE_1) | instskip(NEXT) | instid1(SALU_CYCLE_1)
	s_add_nc_u64 s[60:61], s[2:3], s[60:61]
	s_add_co_u32 s56, s56, s60
	s_cselect_b32 s0, -1, 0
	s_delay_alu instid0(SALU_CYCLE_1) | instskip(SKIP_1) | instid1(SALU_CYCLE_1)
	s_cmp_lg_u32 s0, 0
	s_add_co_ci_u32 s57, s57, s61
	s_mul_u64 s[58:59], s[58:59], s[56:57]
	s_delay_alu instid0(SALU_CYCLE_1)
	s_mul_hi_u32 s61, s56, s59
	s_mul_i32 s60, s56, s59
	s_mul_hi_u32 s2, s56, s58
	s_mul_i32 s43, s57, s58
	s_add_nc_u64 s[60:61], s[2:3], s[60:61]
	s_mul_hi_u32 s0, s57, s58
	s_mul_hi_u32 s62, s57, s59
	s_add_co_u32 s2, s60, s43
	s_add_co_ci_u32 s2, s61, s0
	s_mul_i32 s58, s57, s59
	s_add_co_ci_u32 s59, s62, 0
	s_delay_alu instid0(SALU_CYCLE_1) | instskip(NEXT) | instid1(SALU_CYCLE_1)
	s_add_nc_u64 s[58:59], s[2:3], s[58:59]
	s_add_co_u32 s0, s56, s58
	s_cselect_b32 s2, -1, 0
	v_nop
	v_mul_hi_u32 v18, v10, s0
	s_cmp_lg_u32 s2, 0
	s_add_co_ci_u32 s2, s57, s59
	s_and_b64 s[56:57], s[0:1], s[34:35]
	v_mul_u64_e32 v[12:13], s[2:3], v[10:11]
	v_mul_u64_e32 v[8:9], s[56:57], v[14:15]
	;; [unrolled: 1-line block ×3, first 2 shown]
	s_delay_alu instid0(VALU_DEP_3) | instskip(NEXT) | instid1(VALU_DEP_1)
	v_add_nc_u64_e32 v[12:13], v[18:19], v[12:13]
	v_add_co_u32 v3, vcc_lo, v12, v8
	s_delay_alu instid0(VALU_DEP_2) | instskip(NEXT) | instid1(VALU_DEP_4)
	v_add_co_ci_u32_e32 v18, vcc_lo, v13, v9, vcc_lo
	v_add_co_ci_u32_e32 v17, vcc_lo, 0, v17, vcc_lo
	s_delay_alu instid0(VALU_DEP_1) | instskip(NEXT) | instid1(VALU_DEP_1)
	v_add_nc_u64_e32 v[8:9], v[18:19], v[16:17]
	v_mul_u64_e32 v[12:13], s[54:55], v[8:9]
	s_delay_alu instid0(VALU_DEP_1) | instskip(NEXT) | instid1(VALU_DEP_2)
	v_sub_nc_u32_e32 v3, v14, v13
	v_sub_co_u32 v7, vcc_lo, v10, v12
	s_delay_alu instid0(VALU_DEP_1) | instskip(NEXT) | instid1(VALU_DEP_3)
	v_sub_co_ci_u32_e64 v14, null, v14, v13, vcc_lo
	v_subrev_co_ci_u32_e64 v3, null, s55, v3, vcc_lo
	s_delay_alu instid0(VALU_DEP_3) | instskip(SKIP_1) | instid1(VALU_DEP_3)
	v_sub_co_u32 v10, s0, v7, s54
	v_add_nc_u64_e32 v[12:13], 1, v[8:9]
	v_subrev_co_ci_u32_e64 v3, null, 0, v3, s0
	s_delay_alu instid0(VALU_DEP_3) | instskip(SKIP_1) | instid1(VALU_DEP_3)
	v_cmp_le_u32_e32 vcc_lo, s54, v10
	v_cndmask_b32_e64 v10, 0, -1, vcc_lo
	v_cmp_le_u32_e32 vcc_lo, s55, v3
	v_cndmask_b32_e64 v11, 0, -1, vcc_lo
	;; [unrolled: 2-line block ×4, first 2 shown]
	v_cmp_eq_u32_e32 vcc_lo, s55, v3
	v_cndmask_b32_e32 v3, v11, v10, vcc_lo
	v_cmp_eq_u32_e32 vcc_lo, s55, v14
	v_add_nc_u64_e32 v[10:11], 2, v[8:9]
	v_cndmask_b32_e32 v7, v15, v7, vcc_lo
	s_delay_alu instid0(VALU_DEP_4) | instskip(NEXT) | instid1(VALU_DEP_2)
	v_cmp_ne_u32_e32 vcc_lo, 0, v3
	v_cmp_ne_u32_e64 s0, 0, v7
	s_delay_alu instid0(VALU_DEP_4) | instskip(NEXT) | instid1(VALU_DEP_1)
	v_dual_cndmask_b32 v3, v13, v11, vcc_lo :: v_dual_cndmask_b32 v7, v12, v10, vcc_lo
	v_dual_cndmask_b32 v3, v9, v3, s0 :: v_dual_bitop2_b32 v10, s42, v6 bitop3:0x14
	s_delay_alu instid0(VALU_DEP_1) | instskip(NEXT) | instid1(VALU_DEP_2)
	v_dual_mov_b32 v11, v10 :: v_dual_cndmask_b32 v7, v8, v7, s0
	v_xor_b32_e32 v9, v3, v10
	s_delay_alu instid0(VALU_DEP_2) | instskip(NEXT) | instid1(VALU_DEP_1)
	v_xor_b32_e32 v8, v7, v10
	v_sub_nc_u64_e32 v[12:13], v[8:9], v[10:11]
.LBB7_6:                                ;   in Loop: Header=BB7_4 Depth=1
	s_and_not1_saveexec_b32 s0, s1
	s_cbranch_execz .LBB7_8
; %bb.7:                                ;   in Loop: Header=BB7_4 Depth=1
	s_sub_co_i32 s1, 0, s10
	v_mov_b32_e32 v13, v2
	v_mul_lo_u32 v3, s1, v32
	s_delay_alu instid0(VALU_DEP_1) | instskip(NEXT) | instid1(VALU_DEP_1)
	v_mul_hi_u32 v3, v32, v3
	v_add_nc_u32_e32 v3, v32, v3
	s_delay_alu instid0(VALU_DEP_1) | instskip(NEXT) | instid1(VALU_DEP_1)
	v_mul_hi_u32 v3, v4, v3
	v_mul_lo_u32 v7, v3, s10
	v_add_nc_u32_e32 v8, 1, v3
	s_delay_alu instid0(VALU_DEP_2) | instskip(NEXT) | instid1(VALU_DEP_1)
	v_sub_nc_u32_e32 v7, v4, v7
	v_cmp_le_u32_e32 vcc_lo, s10, v7
	s_delay_alu instid0(VALU_DEP_3) | instskip(SKIP_1) | instid1(VALU_DEP_1)
	v_cndmask_b32_e32 v3, v3, v8, vcc_lo
	v_subrev_nc_u32_e32 v9, s10, v7
	v_dual_cndmask_b32 v7, v7, v9 :: v_dual_add_nc_u32 v8, 1, v3
	s_delay_alu instid0(VALU_DEP_1) | instskip(NEXT) | instid1(VALU_DEP_2)
	v_cmp_le_u32_e32 vcc_lo, s10, v7
	v_cndmask_b32_e32 v12, v3, v8, vcc_lo
.LBB7_8:                                ;   in Loop: Header=BB7_4 Depth=1
	s_or_b32 exec_lo, exec_lo, s0
	s_delay_alu instid0(VALU_DEP_1) | instskip(SKIP_1) | instid1(VALU_DEP_1)
	v_or_b32_e32 v3, s9, v13
                                        ; implicit-def: $vgpr8_vgpr9
	s_mov_b32 s0, exec_lo
	v_cmpx_ne_u64_e32 0, v[2:3]
	s_xor_b32 s1, exec_lo, s0
	s_cbranch_execz .LBB7_10
; %bb.9:                                ;   in Loop: Header=BB7_4 Depth=1
	s_ashr_i32 s54, s9, 31
	v_dual_mov_b32 v15, v2 :: v_dual_ashrrev_i32 v8, 31, v13
	s_mov_b32 s55, s54
	v_mov_b32_e32 v23, v2
	s_add_nc_u64 s[56:57], s[8:9], s[54:55]
	s_delay_alu instid0(VALU_DEP_2) | instskip(SKIP_1) | instid1(SALU_CYCLE_1)
	v_mov_b32_e32 v9, v8
	s_xor_b64 s[54:55], s[56:57], s[54:55]
	s_cvt_f32_u32 s0, s54
	s_cvt_f32_u32 s2, s55
	s_sub_nc_u64 s[58:59], 0, s[54:55]
	v_add_nc_u64_e32 v[10:11], v[12:13], v[8:9]
	v_mov_b32_e32 v19, v2
	s_fmamk_f32 s0, s2, 0x4f800000, s0
	s_delay_alu instid0(SALU_CYCLE_3) | instskip(NEXT) | instid1(VALU_DEP_2)
	v_s_rcp_f32 s0, s0
	v_xor_b32_e32 v14, v10, v8
	s_delay_alu instid0(VALU_DEP_3) | instskip(NEXT) | instid1(TRANS32_DEP_1)
	v_xor_b32_e32 v18, v11, v8
	s_mul_f32 s0, s0, 0x5f7ffffc
	s_delay_alu instid0(SALU_CYCLE_3) | instskip(NEXT) | instid1(SALU_CYCLE_3)
	s_mul_f32 s2, s0, 0x2f800000
	s_trunc_f32 s2, s2
	s_delay_alu instid0(SALU_CYCLE_3) | instskip(SKIP_1) | instid1(SALU_CYCLE_2)
	s_fmamk_f32 s0, s2, 0xcf800000, s0
	s_cvt_u32_f32 s57, s2
	s_cvt_u32_f32 s56, s0
	s_delay_alu instid0(SALU_CYCLE_3) | instskip(NEXT) | instid1(SALU_CYCLE_1)
	s_mul_u64 s[60:61], s[58:59], s[56:57]
	s_mul_hi_u32 s63, s56, s61
	s_mul_i32 s62, s56, s61
	s_mul_hi_u32 s2, s56, s60
	s_mul_i32 s43, s57, s60
	s_add_nc_u64 s[62:63], s[2:3], s[62:63]
	s_mul_hi_u32 s0, s57, s60
	s_mul_hi_u32 s64, s57, s61
	s_add_co_u32 s2, s62, s43
	s_add_co_ci_u32 s2, s63, s0
	s_mul_i32 s60, s57, s61
	s_add_co_ci_u32 s61, s64, 0
	s_delay_alu instid0(SALU_CYCLE_1) | instskip(NEXT) | instid1(SALU_CYCLE_1)
	s_add_nc_u64 s[60:61], s[2:3], s[60:61]
	s_add_co_u32 s56, s56, s60
	s_cselect_b32 s0, -1, 0
	s_delay_alu instid0(SALU_CYCLE_1) | instskip(SKIP_1) | instid1(SALU_CYCLE_1)
	s_cmp_lg_u32 s0, 0
	s_add_co_ci_u32 s57, s57, s61
	s_mul_u64 s[58:59], s[58:59], s[56:57]
	s_delay_alu instid0(SALU_CYCLE_1)
	s_mul_hi_u32 s61, s56, s59
	s_mul_i32 s60, s56, s59
	s_mul_hi_u32 s2, s56, s58
	s_mul_i32 s43, s57, s58
	s_add_nc_u64 s[60:61], s[2:3], s[60:61]
	s_mul_hi_u32 s0, s57, s58
	s_mul_hi_u32 s62, s57, s59
	s_add_co_u32 s2, s60, s43
	s_add_co_ci_u32 s2, s61, s0
	s_mul_i32 s58, s57, s59
	s_add_co_ci_u32 s59, s62, 0
	s_delay_alu instid0(SALU_CYCLE_1) | instskip(NEXT) | instid1(SALU_CYCLE_1)
	s_add_nc_u64 s[58:59], s[2:3], s[58:59]
	s_add_co_u32 s0, s56, s58
	s_cselect_b32 s2, -1, 0
	v_mul_hi_u32 v22, v14, s0
	s_cmp_lg_u32 s2, 0
	s_add_co_ci_u32 s2, s57, s59
	s_and_b64 s[56:57], s[0:1], s[34:35]
	v_mul_u64_e32 v[16:17], s[2:3], v[14:15]
	v_mul_u64_e32 v[10:11], s[56:57], v[18:19]
	;; [unrolled: 1-line block ×3, first 2 shown]
	s_delay_alu instid0(VALU_DEP_3) | instskip(NEXT) | instid1(VALU_DEP_1)
	v_add_nc_u64_e32 v[16:17], v[22:23], v[16:17]
	v_add_co_u32 v3, vcc_lo, v16, v10
	s_delay_alu instid0(VALU_DEP_2) | instskip(NEXT) | instid1(VALU_DEP_4)
	v_add_co_ci_u32_e32 v22, vcc_lo, v17, v11, vcc_lo
	v_add_co_ci_u32_e32 v21, vcc_lo, 0, v21, vcc_lo
	s_delay_alu instid0(VALU_DEP_1) | instskip(NEXT) | instid1(VALU_DEP_1)
	v_add_nc_u64_e32 v[10:11], v[22:23], v[20:21]
	v_mul_u64_e32 v[10:11], s[54:55], v[10:11]
	s_delay_alu instid0(VALU_DEP_1) | instskip(NEXT) | instid1(VALU_DEP_2)
	v_sub_nc_u32_e32 v3, v18, v11
	v_sub_co_u32 v7, vcc_lo, v14, v10
	s_delay_alu instid0(VALU_DEP_1) | instskip(NEXT) | instid1(VALU_DEP_3)
	v_sub_co_ci_u32_e64 v10, null, v18, v11, vcc_lo
	v_subrev_co_ci_u32_e64 v3, null, s55, v3, vcc_lo
	s_delay_alu instid0(VALU_DEP_3) | instskip(SKIP_1) | instid1(VALU_DEP_3)
	v_sub_co_u32 v11, vcc_lo, v7, s54
	v_cmp_le_u32_e64 s0, s54, v7
	v_subrev_co_ci_u32_e64 v14, null, 0, v3, vcc_lo
	v_subrev_co_ci_u32_e64 v3, null, s55, v3, vcc_lo
	s_delay_alu instid0(VALU_DEP_3) | instskip(SKIP_2) | instid1(VALU_DEP_2)
	v_cndmask_b32_e64 v15, 0, -1, s0
	v_cmp_le_u32_e64 s0, s54, v11
	v_cmp_le_u32_e32 vcc_lo, s55, v10
	v_cndmask_b32_e64 v16, 0, -1, s0
	v_cmp_le_u32_e64 s0, s55, v14
	v_cndmask_b32_e64 v18, 0, -1, vcc_lo
	v_cmp_eq_u32_e32 vcc_lo, s55, v14
	s_delay_alu instid0(VALU_DEP_3) | instskip(SKIP_1) | instid1(VALU_DEP_2)
	v_cndmask_b32_e64 v17, 0, -1, s0
	v_cmp_eq_u32_e64 s0, s55, v10
	v_cndmask_b32_e32 v16, v17, v16, vcc_lo
	v_sub_co_u32 v17, vcc_lo, v11, s54
	s_delay_alu instid0(VALU_DEP_1) | instskip(NEXT) | instid1(VALU_DEP_3)
	v_subrev_co_ci_u32_e64 v3, null, 0, v3, vcc_lo
	v_cmp_ne_u32_e32 vcc_lo, 0, v16
	v_cndmask_b32_e64 v15, v18, v15, s0
	s_delay_alu instid0(VALU_DEP_3) | instskip(NEXT) | instid1(VALU_DEP_2)
	v_dual_cndmask_b32 v3, v14, v3, vcc_lo :: v_dual_cndmask_b32 v11, v11, v17, vcc_lo
	v_cmp_ne_u32_e32 vcc_lo, 0, v15
	s_delay_alu instid0(VALU_DEP_2) | instskip(NEXT) | instid1(VALU_DEP_3)
	v_cndmask_b32_e32 v3, v10, v3, vcc_lo
	v_cndmask_b32_e32 v7, v7, v11, vcc_lo
	s_delay_alu instid0(VALU_DEP_2) | instskip(NEXT) | instid1(VALU_DEP_2)
	v_xor_b32_e32 v11, v3, v8
	v_xor_b32_e32 v10, v7, v8
	s_delay_alu instid0(VALU_DEP_1)
	v_sub_nc_u64_e32 v[8:9], v[10:11], v[8:9]
.LBB7_10:                               ;   in Loop: Header=BB7_4 Depth=1
	s_and_not1_saveexec_b32 s0, s1
	s_cbranch_execz .LBB7_12
; %bb.11:                               ;   in Loop: Header=BB7_4 Depth=1
	v_cvt_f32_u32_e32 v3, s8
	s_sub_co_i32 s1, 0, s8
	v_mov_b32_e32 v9, v2
	s_delay_alu instid0(VALU_DEP_2) | instskip(SKIP_1) | instid1(TRANS32_DEP_1)
	v_rcp_iflag_f32_e32 v3, v3
	v_nop
	v_mul_f32_e32 v3, 0x4f7ffffe, v3
	s_delay_alu instid0(VALU_DEP_1) | instskip(NEXT) | instid1(VALU_DEP_1)
	v_cvt_u32_f32_e32 v3, v3
	v_mul_lo_u32 v7, s1, v3
	s_delay_alu instid0(VALU_DEP_1) | instskip(NEXT) | instid1(VALU_DEP_1)
	v_mul_hi_u32 v7, v3, v7
	v_add_nc_u32_e32 v3, v3, v7
	s_delay_alu instid0(VALU_DEP_1) | instskip(NEXT) | instid1(VALU_DEP_1)
	v_mul_hi_u32 v3, v12, v3
	v_mul_lo_u32 v3, v3, s8
	s_delay_alu instid0(VALU_DEP_1) | instskip(NEXT) | instid1(VALU_DEP_1)
	v_sub_nc_u32_e32 v3, v12, v3
	v_subrev_nc_u32_e32 v7, s8, v3
	v_cmp_le_u32_e32 vcc_lo, s8, v3
	s_delay_alu instid0(VALU_DEP_2) | instskip(NEXT) | instid1(VALU_DEP_1)
	v_cndmask_b32_e32 v3, v3, v7, vcc_lo
	v_subrev_nc_u32_e32 v7, s8, v3
	v_cmp_le_u32_e32 vcc_lo, s8, v3
	s_delay_alu instid0(VALU_DEP_2)
	v_cndmask_b32_e32 v8, v3, v7, vcc_lo
.LBB7_12:                               ;   in Loop: Header=BB7_4 Depth=1
	s_or_b32 exec_lo, exec_lo, s0
	v_or_b32_e32 v3, s29, v5
                                        ; implicit-def: $vgpr10_vgpr11
	s_mov_b32 s0, exec_lo
	s_delay_alu instid0(VALU_DEP_1)
	v_cmpx_ne_u64_e32 0, v[2:3]
	s_xor_b32 s1, exec_lo, s0
	s_cbranch_execz .LBB7_14
; %bb.13:                               ;   in Loop: Header=BB7_4 Depth=1
	s_ashr_i32 s54, s29, 31
	v_dual_mov_b32 v7, v6 :: v_dual_mov_b32 v15, v2
	s_mov_b32 s55, s54
	v_mov_b32_e32 v23, v2
	s_add_nc_u64 s[56:57], s[28:29], s[54:55]
	s_delay_alu instid0(VALU_DEP_2)
	v_add_nc_u64_e32 v[10:11], v[4:5], v[6:7]
	s_xor_b64 s[56:57], s[56:57], s[54:55]
	v_mov_b32_e32 v19, v2
	s_cvt_f32_u32 s0, s56
	s_cvt_f32_u32 s2, s57
	s_sub_nc_u64 s[60:61], 0, s[56:57]
	s_delay_alu instid0(VALU_DEP_2) | instskip(NEXT) | instid1(SALU_CYCLE_1)
	v_xor_b32_e32 v14, v10, v6
	s_fmamk_f32 s0, s2, 0x4f800000, s0
	v_xor_b32_e32 v18, v11, v6
	v_xor_b32_e32 v6, s54, v6
	s_delay_alu instid0(SALU_CYCLE_1) | instskip(NEXT) | instid1(TRANS32_DEP_1)
	v_s_rcp_f32 s0, s0
	s_mul_f32 s0, s0, 0x5f7ffffc
	s_delay_alu instid0(SALU_CYCLE_3) | instskip(NEXT) | instid1(SALU_CYCLE_3)
	s_mul_f32 s2, s0, 0x2f800000
	s_trunc_f32 s2, s2
	s_delay_alu instid0(SALU_CYCLE_3) | instskip(SKIP_1) | instid1(SALU_CYCLE_2)
	s_fmamk_f32 s0, s2, 0xcf800000, s0
	s_cvt_u32_f32 s59, s2
	s_cvt_u32_f32 s58, s0
	s_delay_alu instid0(SALU_CYCLE_3) | instskip(NEXT) | instid1(SALU_CYCLE_1)
	s_mul_u64 s[62:63], s[60:61], s[58:59]
	s_mul_hi_u32 s65, s58, s63
	s_mul_i32 s64, s58, s63
	s_mul_hi_u32 s2, s58, s62
	s_mul_i32 s43, s59, s62
	s_add_nc_u64 s[64:65], s[2:3], s[64:65]
	s_mul_hi_u32 s0, s59, s62
	s_mul_hi_u32 s55, s59, s63
	s_add_co_u32 s2, s64, s43
	s_add_co_ci_u32 s2, s65, s0
	s_mul_i32 s62, s59, s63
	s_add_co_ci_u32 s63, s55, 0
	s_delay_alu instid0(SALU_CYCLE_1) | instskip(NEXT) | instid1(SALU_CYCLE_1)
	s_add_nc_u64 s[62:63], s[2:3], s[62:63]
	s_add_co_u32 s58, s58, s62
	s_cselect_b32 s0, -1, 0
	s_delay_alu instid0(SALU_CYCLE_1) | instskip(SKIP_1) | instid1(SALU_CYCLE_1)
	s_cmp_lg_u32 s0, 0
	s_add_co_ci_u32 s59, s59, s63
	s_mul_u64 s[60:61], s[60:61], s[58:59]
	s_delay_alu instid0(SALU_CYCLE_1)
	s_mul_hi_u32 s63, s58, s61
	s_mul_i32 s62, s58, s61
	s_mul_hi_u32 s2, s58, s60
	s_mul_i32 s43, s59, s60
	s_add_nc_u64 s[62:63], s[2:3], s[62:63]
	s_mul_hi_u32 s0, s59, s60
	s_mul_hi_u32 s55, s59, s61
	s_add_co_u32 s2, s62, s43
	s_add_co_ci_u32 s2, s63, s0
	s_mul_i32 s60, s59, s61
	s_add_co_ci_u32 s61, s55, 0
	s_delay_alu instid0(SALU_CYCLE_1) | instskip(NEXT) | instid1(SALU_CYCLE_1)
	s_add_nc_u64 s[60:61], s[2:3], s[60:61]
	s_add_co_u32 s0, s58, s60
	s_cselect_b32 s2, -1, 0
	v_nop
	v_mul_hi_u32 v22, v14, s0
	s_cmp_lg_u32 s2, 0
	s_add_co_ci_u32 s2, s59, s61
	s_and_b64 s[58:59], s[0:1], s[34:35]
	v_mul_u64_e32 v[16:17], s[2:3], v[14:15]
	v_mul_u64_e32 v[10:11], s[58:59], v[18:19]
	;; [unrolled: 1-line block ×3, first 2 shown]
	s_delay_alu instid0(VALU_DEP_3) | instskip(NEXT) | instid1(VALU_DEP_1)
	v_add_nc_u64_e32 v[16:17], v[22:23], v[16:17]
	v_add_co_u32 v3, vcc_lo, v16, v10
	s_delay_alu instid0(VALU_DEP_2) | instskip(NEXT) | instid1(VALU_DEP_4)
	v_add_co_ci_u32_e32 v22, vcc_lo, v17, v11, vcc_lo
	v_add_co_ci_u32_e32 v21, vcc_lo, 0, v21, vcc_lo
	s_delay_alu instid0(VALU_DEP_1) | instskip(NEXT) | instid1(VALU_DEP_1)
	v_add_nc_u64_e32 v[10:11], v[22:23], v[20:21]
	v_mul_u64_e32 v[16:17], s[56:57], v[10:11]
	s_delay_alu instid0(VALU_DEP_1) | instskip(NEXT) | instid1(VALU_DEP_2)
	v_sub_nc_u32_e32 v3, v18, v17
	v_sub_co_u32 v7, vcc_lo, v14, v16
	s_delay_alu instid0(VALU_DEP_1) | instskip(NEXT) | instid1(VALU_DEP_3)
	v_sub_co_ci_u32_e64 v18, null, v18, v17, vcc_lo
	v_subrev_co_ci_u32_e64 v3, null, s57, v3, vcc_lo
	s_delay_alu instid0(VALU_DEP_3) | instskip(SKIP_1) | instid1(VALU_DEP_3)
	v_sub_co_u32 v14, s0, v7, s56
	v_add_nc_u64_e32 v[16:17], 1, v[10:11]
	v_subrev_co_ci_u32_e64 v3, null, 0, v3, s0
	s_delay_alu instid0(VALU_DEP_3) | instskip(SKIP_1) | instid1(VALU_DEP_3)
	v_cmp_le_u32_e32 vcc_lo, s56, v14
	v_cndmask_b32_e64 v14, 0, -1, vcc_lo
	v_cmp_le_u32_e32 vcc_lo, s57, v3
	v_cndmask_b32_e64 v15, 0, -1, vcc_lo
	v_cmp_le_u32_e32 vcc_lo, s56, v7
	v_cndmask_b32_e64 v7, 0, -1, vcc_lo
	v_cmp_le_u32_e32 vcc_lo, s57, v18
	v_cndmask_b32_e64 v19, 0, -1, vcc_lo
	v_cmp_eq_u32_e32 vcc_lo, s57, v3
	v_cndmask_b32_e32 v3, v15, v14, vcc_lo
	v_cmp_eq_u32_e32 vcc_lo, s57, v18
	v_add_nc_u64_e32 v[14:15], 2, v[10:11]
	v_cndmask_b32_e32 v7, v19, v7, vcc_lo
	s_delay_alu instid0(VALU_DEP_4) | instskip(NEXT) | instid1(VALU_DEP_2)
	v_cmp_ne_u32_e32 vcc_lo, 0, v3
	v_cmp_ne_u32_e64 s0, 0, v7
	s_delay_alu instid0(VALU_DEP_4) | instskip(NEXT) | instid1(VALU_DEP_1)
	v_dual_cndmask_b32 v3, v17, v15, vcc_lo :: v_dual_cndmask_b32 v7, v16, v14, vcc_lo
	v_cndmask_b32_e64 v3, v11, v3, s0
	s_delay_alu instid0(VALU_DEP_2) | instskip(NEXT) | instid1(VALU_DEP_2)
	v_cndmask_b32_e64 v10, v10, v7, s0
	v_dual_mov_b32 v7, v6 :: v_dual_bitop2_b32 v11, v3, v6 bitop3:0x14
	s_delay_alu instid0(VALU_DEP_2) | instskip(NEXT) | instid1(VALU_DEP_1)
	v_xor_b32_e32 v10, v10, v6
	v_sub_nc_u64_e32 v[10:11], v[10:11], v[6:7]
.LBB7_14:                               ;   in Loop: Header=BB7_4 Depth=1
	s_and_not1_saveexec_b32 s0, s1
	s_cbranch_execz .LBB7_16
; %bb.15:                               ;   in Loop: Header=BB7_4 Depth=1
	v_cvt_f32_u32_e32 v3, s28
	s_sub_co_i32 s1, 0, s28
	v_mov_b32_e32 v11, v2
	s_delay_alu instid0(VALU_DEP_2) | instskip(SKIP_1) | instid1(TRANS32_DEP_1)
	v_rcp_iflag_f32_e32 v3, v3
	v_nop
	v_mul_f32_e32 v3, 0x4f7ffffe, v3
	s_delay_alu instid0(VALU_DEP_1) | instskip(NEXT) | instid1(VALU_DEP_1)
	v_cvt_u32_f32_e32 v3, v3
	v_mul_lo_u32 v6, s1, v3
	s_delay_alu instid0(VALU_DEP_1) | instskip(NEXT) | instid1(VALU_DEP_1)
	v_mul_hi_u32 v6, v3, v6
	v_add_nc_u32_e32 v3, v3, v6
	s_delay_alu instid0(VALU_DEP_1) | instskip(NEXT) | instid1(VALU_DEP_1)
	v_mul_hi_u32 v3, v0, v3
	v_mul_lo_u32 v6, v3, s28
	s_delay_alu instid0(VALU_DEP_1) | instskip(NEXT) | instid1(VALU_DEP_1)
	v_sub_nc_u32_e32 v6, v0, v6
	v_subrev_nc_u32_e32 v10, s28, v6
	v_cmp_le_u32_e32 vcc_lo, s28, v6
	s_delay_alu instid0(VALU_DEP_2) | instskip(NEXT) | instid1(VALU_DEP_1)
	v_dual_cndmask_b32 v6, v6, v10 :: v_dual_add_nc_u32 v7, 1, v3
	v_cndmask_b32_e32 v3, v3, v7, vcc_lo
	s_delay_alu instid0(VALU_DEP_2) | instskip(NEXT) | instid1(VALU_DEP_2)
	v_cmp_le_u32_e32 vcc_lo, s28, v6
	v_add_nc_u32_e32 v7, 1, v3
	s_delay_alu instid0(VALU_DEP_1)
	v_cndmask_b32_e32 v10, v3, v7, vcc_lo
.LBB7_16:                               ;   in Loop: Header=BB7_4 Depth=1
	s_or_b32 exec_lo, exec_lo, s0
	v_mul_u64_e32 v[12:13], s[10:11], v[12:13]
	s_mov_b32 s1, exec_lo
	s_delay_alu instid0(VALU_DEP_1) | instskip(NEXT) | instid1(VALU_DEP_1)
	v_sub_nc_u64_e32 v[6:7], v[4:5], v[12:13]
	v_add_nc_u64_e32 v[14:15], s[18:19], v[6:7]
	v_mov_b64_e32 v[6:7], 0
	s_delay_alu instid0(VALU_DEP_2)
	v_cmpx_lt_i64_e64 s[44:45], v[14:15]
	s_cbranch_execz .LBB7_22
; %bb.17:                               ;   in Loop: Header=BB7_4 Depth=1
	v_add_nc_u64_e32 v[6:7], s[52:53], v[14:15]
                                        ; implicit-def: $vgpr16_vgpr17
	s_mov_b32 s0, exec_lo
	s_delay_alu instid0(VALU_DEP_1) | instskip(NEXT) | instid1(VALU_DEP_1)
	v_or_b32_e32 v3, s23, v7
	v_cmpx_ne_u64_e32 0, v[2:3]
	s_xor_b32 s43, exec_lo, s0
	s_cbranch_execz .LBB7_19
; %bb.18:                               ;   in Loop: Header=BB7_4 Depth=1
	s_ashr_i32 s54, s23, 31
	v_dual_mov_b32 v19, v2 :: v_dual_ashrrev_i32 v16, 31, v7
	s_mov_b32 s55, s54
	v_mov_b32_e32 v27, v2
	s_add_nc_u64 s[56:57], s[22:23], s[54:55]
	s_delay_alu instid0(VALU_DEP_2) | instskip(SKIP_1) | instid1(SALU_CYCLE_1)
	v_mov_b32_e32 v17, v16
	s_xor_b64 s[56:57], s[56:57], s[54:55]
	s_cvt_f32_u32 s0, s56
	s_cvt_f32_u32 s2, s57
	s_sub_nc_u64 s[60:61], 0, s[56:57]
	v_add_nc_u64_e32 v[6:7], v[6:7], v[16:17]
	v_mov_b32_e32 v23, v2
	s_fmamk_f32 s0, s2, 0x4f800000, s0
	s_delay_alu instid0(SALU_CYCLE_3) | instskip(NEXT) | instid1(VALU_DEP_2)
	v_s_rcp_f32 s0, s0
	v_xor_b32_e32 v18, v6, v16
	s_delay_alu instid0(VALU_DEP_3) | instskip(NEXT) | instid1(TRANS32_DEP_1)
	v_xor_b32_e32 v22, v7, v16
	s_mul_f32 s0, s0, 0x5f7ffffc
	s_delay_alu instid0(SALU_CYCLE_3) | instskip(NEXT) | instid1(SALU_CYCLE_3)
	s_mul_f32 s2, s0, 0x2f800000
	s_trunc_f32 s2, s2
	s_delay_alu instid0(SALU_CYCLE_3) | instskip(SKIP_1) | instid1(SALU_CYCLE_2)
	s_fmamk_f32 s0, s2, 0xcf800000, s0
	s_cvt_u32_f32 s59, s2
	s_cvt_u32_f32 s58, s0
	s_delay_alu instid0(SALU_CYCLE_3) | instskip(NEXT) | instid1(SALU_CYCLE_1)
	s_mul_u64 s[62:63], s[60:61], s[58:59]
	s_mul_hi_u32 s65, s58, s63
	s_mul_i32 s64, s58, s63
	s_mul_hi_u32 s2, s58, s62
	s_mul_i32 s55, s59, s62
	s_add_nc_u64 s[64:65], s[2:3], s[64:65]
	s_mul_hi_u32 s0, s59, s62
	s_mul_hi_u32 s66, s59, s63
	s_add_co_u32 s2, s64, s55
	s_add_co_ci_u32 s2, s65, s0
	s_mul_i32 s62, s59, s63
	s_add_co_ci_u32 s63, s66, 0
	s_delay_alu instid0(SALU_CYCLE_1) | instskip(NEXT) | instid1(SALU_CYCLE_1)
	s_add_nc_u64 s[62:63], s[2:3], s[62:63]
	s_add_co_u32 s58, s58, s62
	s_cselect_b32 s0, -1, 0
	s_delay_alu instid0(SALU_CYCLE_1) | instskip(SKIP_1) | instid1(SALU_CYCLE_1)
	s_cmp_lg_u32 s0, 0
	s_add_co_ci_u32 s59, s59, s63
	s_mul_u64 s[60:61], s[60:61], s[58:59]
	s_delay_alu instid0(SALU_CYCLE_1)
	s_mul_hi_u32 s63, s58, s61
	s_mul_i32 s62, s58, s61
	s_mul_hi_u32 s2, s58, s60
	s_mul_i32 s55, s59, s60
	s_add_nc_u64 s[62:63], s[2:3], s[62:63]
	s_mul_hi_u32 s0, s59, s60
	s_mul_hi_u32 s64, s59, s61
	s_add_co_u32 s2, s62, s55
	s_add_co_ci_u32 s2, s63, s0
	s_mul_i32 s60, s59, s61
	s_add_co_ci_u32 s61, s64, 0
	s_delay_alu instid0(SALU_CYCLE_1) | instskip(NEXT) | instid1(SALU_CYCLE_1)
	s_add_nc_u64 s[60:61], s[2:3], s[60:61]
	s_add_co_u32 s0, s58, s60
	s_cselect_b32 s2, -1, 0
	v_mul_hi_u32 v26, v18, s0
	s_cmp_lg_u32 s2, 0
	s_add_co_ci_u32 s2, s59, s61
	s_and_b64 s[58:59], s[0:1], s[34:35]
	v_mul_u64_e32 v[20:21], s[2:3], v[18:19]
	v_mul_u64_e32 v[6:7], s[58:59], v[22:23]
	;; [unrolled: 1-line block ×3, first 2 shown]
	s_delay_alu instid0(VALU_DEP_3) | instskip(NEXT) | instid1(VALU_DEP_1)
	v_add_nc_u64_e32 v[20:21], v[26:27], v[20:21]
	v_add_co_u32 v3, vcc_lo, v20, v6
	s_delay_alu instid0(VALU_DEP_2) | instskip(NEXT) | instid1(VALU_DEP_4)
	v_add_co_ci_u32_e32 v26, vcc_lo, v21, v7, vcc_lo
	v_add_co_ci_u32_e32 v25, vcc_lo, 0, v25, vcc_lo
	s_delay_alu instid0(VALU_DEP_1) | instskip(NEXT) | instid1(VALU_DEP_1)
	v_add_nc_u64_e32 v[6:7], v[26:27], v[24:25]
	v_mul_u64_e32 v[20:21], s[56:57], v[6:7]
	s_delay_alu instid0(VALU_DEP_1) | instskip(NEXT) | instid1(VALU_DEP_2)
	v_sub_nc_u32_e32 v3, v22, v21
	v_sub_co_u32 v17, vcc_lo, v18, v20
	s_delay_alu instid0(VALU_DEP_1) | instskip(NEXT) | instid1(VALU_DEP_3)
	v_sub_co_ci_u32_e64 v22, null, v22, v21, vcc_lo
	v_subrev_co_ci_u32_e64 v3, null, s57, v3, vcc_lo
	s_delay_alu instid0(VALU_DEP_3) | instskip(SKIP_1) | instid1(VALU_DEP_3)
	v_sub_co_u32 v18, s0, v17, s56
	v_add_nc_u64_e32 v[20:21], 1, v[6:7]
	v_subrev_co_ci_u32_e64 v3, null, 0, v3, s0
	s_delay_alu instid0(VALU_DEP_3) | instskip(SKIP_1) | instid1(VALU_DEP_3)
	v_cmp_le_u32_e32 vcc_lo, s56, v18
	v_cndmask_b32_e64 v18, 0, -1, vcc_lo
	v_cmp_le_u32_e32 vcc_lo, s57, v3
	v_cndmask_b32_e64 v19, 0, -1, vcc_lo
	;; [unrolled: 2-line block ×4, first 2 shown]
	v_cmp_eq_u32_e32 vcc_lo, s57, v3
	v_cndmask_b32_e32 v3, v19, v18, vcc_lo
	v_cmp_eq_u32_e32 vcc_lo, s57, v22
	v_add_nc_u64_e32 v[18:19], 2, v[6:7]
	v_cndmask_b32_e32 v17, v23, v17, vcc_lo
	s_delay_alu instid0(VALU_DEP_4) | instskip(NEXT) | instid1(VALU_DEP_3)
	v_cmp_ne_u32_e32 vcc_lo, 0, v3
	v_cndmask_b32_e32 v3, v21, v19, vcc_lo
	s_delay_alu instid0(VALU_DEP_3) | instskip(SKIP_1) | instid1(VALU_DEP_1)
	v_cmp_ne_u32_e64 s0, 0, v17
	v_dual_cndmask_b32 v17, v20, v18, vcc_lo :: v_dual_bitop2_b32 v16, s54, v16 bitop3:0x14
	v_dual_cndmask_b32 v3, v7, v3, s0 :: v_dual_cndmask_b32 v6, v6, v17, s0
	s_delay_alu instid0(VALU_DEP_1) | instskip(NEXT) | instid1(VALU_DEP_2)
	v_dual_mov_b32 v17, v16 :: v_dual_bitop2_b32 v7, v3, v16 bitop3:0x14
	v_xor_b32_e32 v6, v6, v16
	s_delay_alu instid0(VALU_DEP_1)
	v_sub_nc_u64_e32 v[16:17], v[6:7], v[16:17]
                                        ; implicit-def: $vgpr6_vgpr7
.LBB7_19:                               ;   in Loop: Header=BB7_4 Depth=1
	s_and_not1_saveexec_b32 s0, s43
	s_cbranch_execz .LBB7_21
; %bb.20:                               ;   in Loop: Header=BB7_4 Depth=1
	v_cvt_f32_u32_e32 v3, s22
	s_sub_co_i32 s2, 0, s22
	v_mov_b32_e32 v17, v2
	s_delay_alu instid0(VALU_DEP_2) | instskip(SKIP_1) | instid1(TRANS32_DEP_1)
	v_rcp_iflag_f32_e32 v3, v3
	v_nop
	v_mul_f32_e32 v3, 0x4f7ffffe, v3
	s_delay_alu instid0(VALU_DEP_1) | instskip(NEXT) | instid1(VALU_DEP_1)
	v_cvt_u32_f32_e32 v3, v3
	v_mul_lo_u32 v7, s2, v3
	s_delay_alu instid0(VALU_DEP_1) | instskip(NEXT) | instid1(VALU_DEP_1)
	v_mul_hi_u32 v7, v3, v7
	v_add_nc_u32_e32 v3, v3, v7
	s_delay_alu instid0(VALU_DEP_1) | instskip(NEXT) | instid1(VALU_DEP_1)
	v_mul_hi_u32 v3, v6, v3
	v_mul_lo_u32 v7, v3, s22
	s_delay_alu instid0(VALU_DEP_1) | instskip(SKIP_1) | instid1(VALU_DEP_2)
	v_sub_nc_u32_e32 v6, v6, v7
	v_add_nc_u32_e32 v7, 1, v3
	v_subrev_nc_u32_e32 v16, s22, v6
	v_cmp_le_u32_e32 vcc_lo, s22, v6
	s_delay_alu instid0(VALU_DEP_2) | instskip(NEXT) | instid1(VALU_DEP_1)
	v_dual_cndmask_b32 v6, v6, v16 :: v_dual_cndmask_b32 v3, v3, v7
	v_cmp_le_u32_e32 vcc_lo, s22, v6
	s_delay_alu instid0(VALU_DEP_2) | instskip(NEXT) | instid1(VALU_DEP_1)
	v_add_nc_u32_e32 v7, 1, v3
	v_cndmask_b32_e32 v16, v3, v7, vcc_lo
.LBB7_21:                               ;   in Loop: Header=BB7_4 Depth=1
	s_or_b32 exec_lo, exec_lo, s0
	s_delay_alu instid0(VALU_DEP_1)
	v_add_nc_u64_e32 v[6:7], 1, v[16:17]
.LBB7_22:                               ;   in Loop: Header=BB7_4 Depth=1
	s_or_b32 exec_lo, exec_lo, s1
	v_or_b32_e32 v3, s23, v15
                                        ; implicit-def: $vgpr18_vgpr19
	s_mov_b32 s0, exec_lo
	s_delay_alu instid0(VALU_DEP_1)
	v_cmpx_ne_u64_e32 0, v[2:3]
	s_xor_b32 s1, exec_lo, s0
	s_cbranch_execz .LBB7_24
; %bb.23:                               ;   in Loop: Header=BB7_4 Depth=1
	s_ashr_i32 s54, s23, 31
	v_dual_mov_b32 v19, v2 :: v_dual_ashrrev_i32 v16, 31, v15
	s_mov_b32 s55, s54
	v_mov_b32_e32 v27, v2
	s_add_nc_u64 s[56:57], s[22:23], s[54:55]
	s_delay_alu instid0(VALU_DEP_2) | instskip(SKIP_1) | instid1(SALU_CYCLE_1)
	v_mov_b32_e32 v17, v16
	s_xor_b64 s[56:57], s[56:57], s[54:55]
	s_cvt_f32_u32 s0, s56
	s_cvt_f32_u32 s2, s57
	s_sub_nc_u64 s[60:61], 0, s[56:57]
	v_add_nc_u64_e32 v[14:15], v[14:15], v[16:17]
	v_mov_b32_e32 v23, v2
	s_fmamk_f32 s0, s2, 0x4f800000, s0
	s_delay_alu instid0(SALU_CYCLE_3) | instskip(NEXT) | instid1(VALU_DEP_2)
	v_s_rcp_f32 s0, s0
	v_xor_b32_e32 v18, v14, v16
	s_delay_alu instid0(VALU_DEP_3) | instskip(NEXT) | instid1(TRANS32_DEP_1)
	v_xor_b32_e32 v22, v15, v16
	s_mul_f32 s0, s0, 0x5f7ffffc
	s_delay_alu instid0(SALU_CYCLE_3) | instskip(NEXT) | instid1(SALU_CYCLE_3)
	s_mul_f32 s2, s0, 0x2f800000
	s_trunc_f32 s2, s2
	s_delay_alu instid0(SALU_CYCLE_3) | instskip(SKIP_1) | instid1(SALU_CYCLE_2)
	s_fmamk_f32 s0, s2, 0xcf800000, s0
	s_cvt_u32_f32 s59, s2
	s_cvt_u32_f32 s58, s0
	s_delay_alu instid0(SALU_CYCLE_3) | instskip(NEXT) | instid1(SALU_CYCLE_1)
	s_mul_u64 s[62:63], s[60:61], s[58:59]
	s_mul_hi_u32 s65, s58, s63
	s_mul_i32 s64, s58, s63
	s_mul_hi_u32 s2, s58, s62
	s_mul_i32 s43, s59, s62
	s_add_nc_u64 s[64:65], s[2:3], s[64:65]
	s_mul_hi_u32 s0, s59, s62
	s_mul_hi_u32 s55, s59, s63
	s_add_co_u32 s2, s64, s43
	s_add_co_ci_u32 s2, s65, s0
	s_mul_i32 s62, s59, s63
	s_add_co_ci_u32 s63, s55, 0
	s_delay_alu instid0(SALU_CYCLE_1) | instskip(NEXT) | instid1(SALU_CYCLE_1)
	s_add_nc_u64 s[62:63], s[2:3], s[62:63]
	s_add_co_u32 s58, s58, s62
	s_cselect_b32 s0, -1, 0
	s_delay_alu instid0(SALU_CYCLE_1) | instskip(SKIP_1) | instid1(SALU_CYCLE_1)
	s_cmp_lg_u32 s0, 0
	s_add_co_ci_u32 s59, s59, s63
	s_mul_u64 s[60:61], s[60:61], s[58:59]
	s_delay_alu instid0(SALU_CYCLE_1)
	s_mul_hi_u32 s63, s58, s61
	s_mul_i32 s62, s58, s61
	s_mul_hi_u32 s2, s58, s60
	s_mul_i32 s43, s59, s60
	s_add_nc_u64 s[62:63], s[2:3], s[62:63]
	s_mul_hi_u32 s0, s59, s60
	s_mul_hi_u32 s55, s59, s61
	s_add_co_u32 s2, s62, s43
	s_add_co_ci_u32 s2, s63, s0
	s_mul_i32 s60, s59, s61
	s_add_co_ci_u32 s61, s55, 0
	s_delay_alu instid0(SALU_CYCLE_1) | instskip(NEXT) | instid1(SALU_CYCLE_1)
	s_add_nc_u64 s[60:61], s[2:3], s[60:61]
	s_add_co_u32 s0, s58, s60
	s_cselect_b32 s2, -1, 0
	v_mul_hi_u32 v26, v18, s0
	s_cmp_lg_u32 s2, 0
	s_add_co_ci_u32 s2, s59, s61
	s_and_b64 s[58:59], s[0:1], s[34:35]
	v_mul_u64_e32 v[20:21], s[2:3], v[18:19]
	v_mul_u64_e32 v[14:15], s[58:59], v[22:23]
	;; [unrolled: 1-line block ×3, first 2 shown]
	s_delay_alu instid0(VALU_DEP_3) | instskip(NEXT) | instid1(VALU_DEP_1)
	v_add_nc_u64_e32 v[20:21], v[26:27], v[20:21]
	v_add_co_u32 v3, vcc_lo, v20, v14
	s_delay_alu instid0(VALU_DEP_2) | instskip(NEXT) | instid1(VALU_DEP_4)
	v_add_co_ci_u32_e32 v26, vcc_lo, v21, v15, vcc_lo
	v_add_co_ci_u32_e32 v25, vcc_lo, 0, v25, vcc_lo
	s_delay_alu instid0(VALU_DEP_1) | instskip(NEXT) | instid1(VALU_DEP_1)
	v_add_nc_u64_e32 v[14:15], v[26:27], v[24:25]
	v_mul_u64_e32 v[20:21], s[56:57], v[14:15]
	s_delay_alu instid0(VALU_DEP_1) | instskip(NEXT) | instid1(VALU_DEP_2)
	v_sub_nc_u32_e32 v3, v22, v21
	v_sub_co_u32 v17, vcc_lo, v18, v20
	s_delay_alu instid0(VALU_DEP_1) | instskip(NEXT) | instid1(VALU_DEP_3)
	v_sub_co_ci_u32_e64 v22, null, v22, v21, vcc_lo
	v_subrev_co_ci_u32_e64 v3, null, s57, v3, vcc_lo
	s_delay_alu instid0(VALU_DEP_3) | instskip(SKIP_1) | instid1(VALU_DEP_3)
	v_sub_co_u32 v18, s0, v17, s56
	v_add_nc_u64_e32 v[20:21], 1, v[14:15]
	v_subrev_co_ci_u32_e64 v3, null, 0, v3, s0
	s_delay_alu instid0(VALU_DEP_3) | instskip(SKIP_1) | instid1(VALU_DEP_3)
	v_cmp_le_u32_e32 vcc_lo, s56, v18
	v_cndmask_b32_e64 v18, 0, -1, vcc_lo
	v_cmp_le_u32_e32 vcc_lo, s57, v3
	v_cndmask_b32_e64 v19, 0, -1, vcc_lo
	;; [unrolled: 2-line block ×4, first 2 shown]
	v_cmp_eq_u32_e32 vcc_lo, s57, v3
	v_cndmask_b32_e32 v3, v19, v18, vcc_lo
	v_cmp_eq_u32_e32 vcc_lo, s57, v22
	v_add_nc_u64_e32 v[18:19], 2, v[14:15]
	v_cndmask_b32_e32 v17, v23, v17, vcc_lo
	s_delay_alu instid0(VALU_DEP_4) | instskip(NEXT) | instid1(VALU_DEP_3)
	v_cmp_ne_u32_e32 vcc_lo, 0, v3
	v_cndmask_b32_e32 v3, v21, v19, vcc_lo
	s_delay_alu instid0(VALU_DEP_3) | instskip(SKIP_1) | instid1(VALU_DEP_1)
	v_cmp_ne_u32_e64 s0, 0, v17
	v_dual_cndmask_b32 v17, v20, v18, vcc_lo :: v_dual_bitop2_b32 v16, s54, v16 bitop3:0x14
	v_dual_cndmask_b32 v3, v15, v3, s0 :: v_dual_cndmask_b32 v14, v14, v17, s0
	s_delay_alu instid0(VALU_DEP_1) | instskip(NEXT) | instid1(VALU_DEP_2)
	v_dual_mov_b32 v17, v16 :: v_dual_bitop2_b32 v15, v3, v16 bitop3:0x14
	v_xor_b32_e32 v14, v14, v16
	s_delay_alu instid0(VALU_DEP_1)
	v_sub_nc_u64_e32 v[18:19], v[14:15], v[16:17]
                                        ; implicit-def: $vgpr14_vgpr15
.LBB7_24:                               ;   in Loop: Header=BB7_4 Depth=1
	s_and_not1_saveexec_b32 s0, s1
	s_cbranch_execz .LBB7_26
; %bb.25:                               ;   in Loop: Header=BB7_4 Depth=1
	v_cvt_f32_u32_e32 v3, s22
	s_sub_co_i32 s1, 0, s22
	v_mov_b32_e32 v19, v2
	s_delay_alu instid0(VALU_DEP_2) | instskip(SKIP_1) | instid1(TRANS32_DEP_1)
	v_rcp_iflag_f32_e32 v3, v3
	v_nop
	v_mul_f32_e32 v3, 0x4f7ffffe, v3
	s_delay_alu instid0(VALU_DEP_1) | instskip(NEXT) | instid1(VALU_DEP_1)
	v_cvt_u32_f32_e32 v3, v3
	v_mul_lo_u32 v15, s1, v3
	s_delay_alu instid0(VALU_DEP_1) | instskip(NEXT) | instid1(VALU_DEP_1)
	v_mul_hi_u32 v15, v3, v15
	v_add_nc_u32_e32 v3, v3, v15
	s_delay_alu instid0(VALU_DEP_1) | instskip(NEXT) | instid1(VALU_DEP_1)
	v_mul_hi_u32 v3, v14, v3
	v_mul_lo_u32 v15, v3, s22
	s_delay_alu instid0(VALU_DEP_1) | instskip(SKIP_1) | instid1(VALU_DEP_2)
	v_sub_nc_u32_e32 v14, v14, v15
	v_add_nc_u32_e32 v15, 1, v3
	v_subrev_nc_u32_e32 v16, s22, v14
	v_cmp_le_u32_e32 vcc_lo, s22, v14
	s_delay_alu instid0(VALU_DEP_2) | instskip(NEXT) | instid1(VALU_DEP_1)
	v_dual_cndmask_b32 v14, v14, v16 :: v_dual_cndmask_b32 v3, v3, v15
	v_cmp_le_u32_e32 vcc_lo, s22, v14
	s_delay_alu instid0(VALU_DEP_2) | instskip(NEXT) | instid1(VALU_DEP_1)
	v_add_nc_u32_e32 v15, 1, v3
	v_cndmask_b32_e32 v18, v3, v15, vcc_lo
.LBB7_26:                               ;   in Loop: Header=BB7_4 Depth=1
	s_or_b32 exec_lo, exec_lo, s0
	v_add_nc_u64_e32 v[8:9], s[16:17], v[8:9]
	v_mov_b64_e32 v[14:15], 0
	s_mov_b32 s1, exec_lo
	s_delay_alu instid0(VALU_DEP_2)
	v_cmpx_lt_i64_e64 s[46:47], v[8:9]
	s_cbranch_execz .LBB7_32
; %bb.27:                               ;   in Loop: Header=BB7_4 Depth=1
	v_add_nc_u64_e32 v[14:15], s[50:51], v[8:9]
                                        ; implicit-def: $vgpr16_vgpr17
	s_mov_b32 s0, exec_lo
	s_delay_alu instid0(VALU_DEP_1) | instskip(NEXT) | instid1(VALU_DEP_1)
	v_or_b32_e32 v3, s21, v15
	v_cmpx_ne_u64_e32 0, v[2:3]
	s_xor_b32 s43, exec_lo, s0
	s_cbranch_execz .LBB7_29
; %bb.28:                               ;   in Loop: Header=BB7_4 Depth=1
	s_ashr_i32 s54, s21, 31
	v_dual_mov_b32 v21, v2 :: v_dual_ashrrev_i32 v16, 31, v15
	s_mov_b32 s55, s54
	s_delay_alu instid0(SALU_CYCLE_1) | instskip(NEXT) | instid1(VALU_DEP_1)
	s_add_nc_u64 s[56:57], s[20:21], s[54:55]
	v_mov_b32_e32 v17, v16
	s_xor_b64 s[56:57], s[56:57], s[54:55]
	s_delay_alu instid0(SALU_CYCLE_1)
	s_cvt_f32_u32 s0, s56
	s_cvt_f32_u32 s2, s57
	s_sub_nc_u64 s[60:61], 0, s[56:57]
	v_add_nc_u64_e32 v[14:15], v[14:15], v[16:17]
	v_mov_b32_e32 v25, v2
	s_fmamk_f32 s0, s2, 0x4f800000, s0
	s_delay_alu instid0(SALU_CYCLE_3) | instskip(NEXT) | instid1(VALU_DEP_2)
	v_s_rcp_f32 s0, s0
	v_xor_b32_e32 v20, v14, v16
	s_delay_alu instid0(VALU_DEP_3) | instskip(SKIP_1) | instid1(TRANS32_DEP_1)
	v_dual_mov_b32 v29, v2 :: v_dual_bitop2_b32 v24, v15, v16 bitop3:0x14
	v_xor_b32_e32 v16, s54, v16
	s_mul_f32 s0, s0, 0x5f7ffffc
	s_delay_alu instid0(SALU_CYCLE_3) | instskip(NEXT) | instid1(SALU_CYCLE_3)
	s_mul_f32 s2, s0, 0x2f800000
	s_trunc_f32 s2, s2
	s_delay_alu instid0(SALU_CYCLE_3) | instskip(SKIP_1) | instid1(SALU_CYCLE_2)
	s_fmamk_f32 s0, s2, 0xcf800000, s0
	s_cvt_u32_f32 s59, s2
	s_cvt_u32_f32 s58, s0
	s_delay_alu instid0(SALU_CYCLE_3) | instskip(NEXT) | instid1(SALU_CYCLE_1)
	s_mul_u64 s[62:63], s[60:61], s[58:59]
	s_mul_hi_u32 s65, s58, s63
	s_mul_i32 s64, s58, s63
	s_mul_hi_u32 s2, s58, s62
	s_mul_i32 s55, s59, s62
	s_add_nc_u64 s[64:65], s[2:3], s[64:65]
	s_mul_hi_u32 s0, s59, s62
	s_mul_hi_u32 s66, s59, s63
	s_add_co_u32 s2, s64, s55
	s_add_co_ci_u32 s2, s65, s0
	s_mul_i32 s62, s59, s63
	s_add_co_ci_u32 s63, s66, 0
	s_delay_alu instid0(SALU_CYCLE_1) | instskip(NEXT) | instid1(SALU_CYCLE_1)
	s_add_nc_u64 s[62:63], s[2:3], s[62:63]
	s_add_co_u32 s58, s58, s62
	s_cselect_b32 s0, -1, 0
	s_delay_alu instid0(SALU_CYCLE_1) | instskip(SKIP_1) | instid1(SALU_CYCLE_1)
	s_cmp_lg_u32 s0, 0
	s_add_co_ci_u32 s59, s59, s63
	s_mul_u64 s[60:61], s[60:61], s[58:59]
	s_delay_alu instid0(SALU_CYCLE_1)
	s_mul_hi_u32 s63, s58, s61
	s_mul_i32 s62, s58, s61
	s_mul_hi_u32 s2, s58, s60
	s_mul_i32 s55, s59, s60
	s_add_nc_u64 s[62:63], s[2:3], s[62:63]
	s_mul_hi_u32 s0, s59, s60
	s_mul_hi_u32 s64, s59, s61
	s_add_co_u32 s2, s62, s55
	s_add_co_ci_u32 s2, s63, s0
	s_mul_i32 s60, s59, s61
	s_add_co_ci_u32 s61, s64, 0
	s_delay_alu instid0(SALU_CYCLE_1) | instskip(NEXT) | instid1(SALU_CYCLE_1)
	s_add_nc_u64 s[60:61], s[2:3], s[60:61]
	s_add_co_u32 s0, s58, s60
	s_cselect_b32 s2, -1, 0
	v_mul_hi_u32 v28, v20, s0
	s_cmp_lg_u32 s2, 0
	s_add_co_ci_u32 s2, s59, s61
	s_and_b64 s[58:59], s[0:1], s[34:35]
	v_mul_u64_e32 v[22:23], s[2:3], v[20:21]
	v_mul_u64_e32 v[14:15], s[58:59], v[24:25]
	;; [unrolled: 1-line block ×3, first 2 shown]
	s_delay_alu instid0(VALU_DEP_3) | instskip(NEXT) | instid1(VALU_DEP_1)
	v_add_nc_u64_e32 v[22:23], v[28:29], v[22:23]
	v_add_co_u32 v3, vcc_lo, v22, v14
	s_delay_alu instid0(VALU_DEP_2) | instskip(NEXT) | instid1(VALU_DEP_4)
	v_add_co_ci_u32_e32 v28, vcc_lo, v23, v15, vcc_lo
	v_add_co_ci_u32_e32 v27, vcc_lo, 0, v27, vcc_lo
	s_delay_alu instid0(VALU_DEP_1) | instskip(NEXT) | instid1(VALU_DEP_1)
	v_add_nc_u64_e32 v[14:15], v[28:29], v[26:27]
	v_mul_u64_e32 v[22:23], s[56:57], v[14:15]
	s_delay_alu instid0(VALU_DEP_1) | instskip(NEXT) | instid1(VALU_DEP_2)
	v_sub_nc_u32_e32 v3, v24, v23
	v_sub_co_u32 v17, vcc_lo, v20, v22
	s_delay_alu instid0(VALU_DEP_1) | instskip(NEXT) | instid1(VALU_DEP_3)
	v_sub_co_ci_u32_e64 v24, null, v24, v23, vcc_lo
	v_subrev_co_ci_u32_e64 v3, null, s57, v3, vcc_lo
	s_delay_alu instid0(VALU_DEP_3) | instskip(SKIP_1) | instid1(VALU_DEP_3)
	v_sub_co_u32 v20, s0, v17, s56
	v_add_nc_u64_e32 v[22:23], 1, v[14:15]
	v_subrev_co_ci_u32_e64 v3, null, 0, v3, s0
	s_delay_alu instid0(VALU_DEP_3) | instskip(SKIP_1) | instid1(VALU_DEP_3)
	v_cmp_le_u32_e32 vcc_lo, s56, v20
	v_cndmask_b32_e64 v20, 0, -1, vcc_lo
	v_cmp_le_u32_e32 vcc_lo, s57, v3
	v_cndmask_b32_e64 v21, 0, -1, vcc_lo
	;; [unrolled: 2-line block ×4, first 2 shown]
	v_cmp_eq_u32_e32 vcc_lo, s57, v3
	v_cndmask_b32_e32 v3, v21, v20, vcc_lo
	v_cmp_eq_u32_e32 vcc_lo, s57, v24
	v_add_nc_u64_e32 v[20:21], 2, v[14:15]
	v_cndmask_b32_e32 v17, v25, v17, vcc_lo
	s_delay_alu instid0(VALU_DEP_4) | instskip(NEXT) | instid1(VALU_DEP_2)
	v_cmp_ne_u32_e32 vcc_lo, 0, v3
	v_cmp_ne_u32_e64 s0, 0, v17
	s_delay_alu instid0(VALU_DEP_4) | instskip(NEXT) | instid1(VALU_DEP_1)
	v_dual_cndmask_b32 v3, v23, v21, vcc_lo :: v_dual_cndmask_b32 v17, v22, v20, vcc_lo
	v_dual_cndmask_b32 v14, v14, v17, s0 :: v_dual_mov_b32 v17, v16
	s_delay_alu instid0(VALU_DEP_1) | instskip(NEXT) | instid1(VALU_DEP_1)
	v_dual_cndmask_b32 v3, v15, v3, s0 :: v_dual_bitop2_b32 v14, v14, v16 bitop3:0x14
	v_xor_b32_e32 v15, v3, v16
	s_delay_alu instid0(VALU_DEP_1)
	v_sub_nc_u64_e32 v[16:17], v[14:15], v[16:17]
                                        ; implicit-def: $vgpr14_vgpr15
.LBB7_29:                               ;   in Loop: Header=BB7_4 Depth=1
	s_and_not1_saveexec_b32 s0, s43
	s_cbranch_execz .LBB7_31
; %bb.30:                               ;   in Loop: Header=BB7_4 Depth=1
	v_cvt_f32_u32_e32 v3, s20
	s_sub_co_i32 s2, 0, s20
	v_mov_b32_e32 v17, v2
	s_delay_alu instid0(VALU_DEP_2) | instskip(SKIP_1) | instid1(TRANS32_DEP_1)
	v_rcp_iflag_f32_e32 v3, v3
	v_nop
	v_mul_f32_e32 v3, 0x4f7ffffe, v3
	s_delay_alu instid0(VALU_DEP_1) | instskip(NEXT) | instid1(VALU_DEP_1)
	v_cvt_u32_f32_e32 v3, v3
	v_mul_lo_u32 v15, s2, v3
	s_delay_alu instid0(VALU_DEP_1) | instskip(NEXT) | instid1(VALU_DEP_1)
	v_mul_hi_u32 v15, v3, v15
	v_add_nc_u32_e32 v3, v3, v15
	s_delay_alu instid0(VALU_DEP_1) | instskip(NEXT) | instid1(VALU_DEP_1)
	v_mul_hi_u32 v3, v14, v3
	v_mul_lo_u32 v15, v3, s20
	s_delay_alu instid0(VALU_DEP_1) | instskip(SKIP_1) | instid1(VALU_DEP_2)
	v_sub_nc_u32_e32 v14, v14, v15
	v_add_nc_u32_e32 v15, 1, v3
	v_subrev_nc_u32_e32 v16, s20, v14
	v_cmp_le_u32_e32 vcc_lo, s20, v14
	s_delay_alu instid0(VALU_DEP_2) | instskip(NEXT) | instid1(VALU_DEP_1)
	v_dual_cndmask_b32 v14, v14, v16 :: v_dual_cndmask_b32 v3, v3, v15
	v_cmp_le_u32_e32 vcc_lo, s20, v14
	s_delay_alu instid0(VALU_DEP_2) | instskip(NEXT) | instid1(VALU_DEP_1)
	v_add_nc_u32_e32 v15, 1, v3
	v_cndmask_b32_e32 v16, v3, v15, vcc_lo
.LBB7_31:                               ;   in Loop: Header=BB7_4 Depth=1
	s_or_b32 exec_lo, exec_lo, s0
	s_delay_alu instid0(VALU_DEP_1)
	v_add_nc_u64_e32 v[14:15], 1, v[16:17]
.LBB7_32:                               ;   in Loop: Header=BB7_4 Depth=1
	s_or_b32 exec_lo, exec_lo, s1
	v_or_b32_e32 v3, s21, v9
                                        ; implicit-def: $vgpr16_vgpr17
	s_mov_b32 s0, exec_lo
	s_delay_alu instid0(VALU_DEP_1)
	v_cmpx_ne_u64_e32 0, v[2:3]
	s_xor_b32 s1, exec_lo, s0
	s_cbranch_execz .LBB7_34
; %bb.33:                               ;   in Loop: Header=BB7_4 Depth=1
	s_ashr_i32 s54, s21, 31
	v_dual_mov_b32 v23, v2 :: v_dual_ashrrev_i32 v16, 31, v9
	s_mov_b32 s55, s54
	v_mov_b32_e32 v27, v2
	s_add_nc_u64 s[56:57], s[20:21], s[54:55]
	s_delay_alu instid0(VALU_DEP_2)
	v_mov_b32_e32 v17, v16
	s_xor_b64 s[56:57], s[56:57], s[54:55]
	v_mov_b32_e32 v31, v2
	s_cvt_f32_u32 s0, s56
	s_cvt_f32_u32 s2, s57
	s_sub_nc_u64 s[60:61], 0, s[56:57]
	v_add_nc_u64_e32 v[20:21], v[8:9], v[16:17]
	s_delay_alu instid0(SALU_CYCLE_1) | instskip(NEXT) | instid1(SALU_CYCLE_3)
	s_fmamk_f32 s0, s2, 0x4f800000, s0
	v_s_rcp_f32 s0, s0
	s_delay_alu instid0(VALU_DEP_1) | instskip(NEXT) | instid1(VALU_DEP_2)
	v_xor_b32_e32 v22, v20, v16
	v_xor_b32_e32 v26, v21, v16
	s_delay_alu instid0(TRANS32_DEP_1) | instskip(NEXT) | instid1(SALU_CYCLE_3)
	s_mul_f32 s0, s0, 0x5f7ffffc
	s_mul_f32 s2, s0, 0x2f800000
	s_delay_alu instid0(SALU_CYCLE_3) | instskip(NEXT) | instid1(SALU_CYCLE_3)
	s_trunc_f32 s2, s2
	s_fmamk_f32 s0, s2, 0xcf800000, s0
	s_cvt_u32_f32 s59, s2
	s_delay_alu instid0(SALU_CYCLE_2) | instskip(NEXT) | instid1(SALU_CYCLE_3)
	s_cvt_u32_f32 s58, s0
	s_mul_u64 s[62:63], s[60:61], s[58:59]
	s_delay_alu instid0(SALU_CYCLE_1)
	s_mul_hi_u32 s65, s58, s63
	s_mul_i32 s64, s58, s63
	s_mul_hi_u32 s2, s58, s62
	s_mul_i32 s43, s59, s62
	s_add_nc_u64 s[64:65], s[2:3], s[64:65]
	s_mul_hi_u32 s0, s59, s62
	s_mul_hi_u32 s55, s59, s63
	s_add_co_u32 s2, s64, s43
	s_add_co_ci_u32 s2, s65, s0
	s_mul_i32 s62, s59, s63
	s_add_co_ci_u32 s63, s55, 0
	s_delay_alu instid0(SALU_CYCLE_1) | instskip(NEXT) | instid1(SALU_CYCLE_1)
	s_add_nc_u64 s[62:63], s[2:3], s[62:63]
	s_add_co_u32 s58, s58, s62
	s_cselect_b32 s0, -1, 0
	s_delay_alu instid0(SALU_CYCLE_1) | instskip(SKIP_1) | instid1(SALU_CYCLE_1)
	s_cmp_lg_u32 s0, 0
	s_add_co_ci_u32 s59, s59, s63
	s_mul_u64 s[60:61], s[60:61], s[58:59]
	s_delay_alu instid0(SALU_CYCLE_1)
	s_mul_hi_u32 s63, s58, s61
	s_mul_i32 s62, s58, s61
	s_mul_hi_u32 s2, s58, s60
	s_mul_i32 s43, s59, s60
	s_add_nc_u64 s[62:63], s[2:3], s[62:63]
	s_mul_hi_u32 s0, s59, s60
	s_mul_hi_u32 s55, s59, s61
	s_add_co_u32 s2, s62, s43
	s_add_co_ci_u32 s2, s63, s0
	s_mul_i32 s60, s59, s61
	s_add_co_ci_u32 s61, s55, 0
	s_delay_alu instid0(SALU_CYCLE_1) | instskip(NEXT) | instid1(SALU_CYCLE_1)
	s_add_nc_u64 s[60:61], s[2:3], s[60:61]
	s_add_co_u32 s0, s58, s60
	s_cselect_b32 s2, -1, 0
	v_mul_hi_u32 v30, v22, s0
	s_cmp_lg_u32 s2, 0
	s_add_co_ci_u32 s2, s59, s61
	s_and_b64 s[58:59], s[0:1], s[34:35]
	v_mul_u64_e32 v[24:25], s[2:3], v[22:23]
	v_mul_u64_e32 v[20:21], s[58:59], v[26:27]
	;; [unrolled: 1-line block ×3, first 2 shown]
	s_delay_alu instid0(VALU_DEP_3) | instskip(NEXT) | instid1(VALU_DEP_1)
	v_add_nc_u64_e32 v[24:25], v[30:31], v[24:25]
	v_add_co_u32 v3, vcc_lo, v24, v20
	s_delay_alu instid0(VALU_DEP_2) | instskip(NEXT) | instid1(VALU_DEP_4)
	v_add_co_ci_u32_e32 v30, vcc_lo, v25, v21, vcc_lo
	v_add_co_ci_u32_e32 v29, vcc_lo, 0, v29, vcc_lo
	s_delay_alu instid0(VALU_DEP_1) | instskip(NEXT) | instid1(VALU_DEP_1)
	v_add_nc_u64_e32 v[20:21], v[30:31], v[28:29]
	v_mul_u64_e32 v[24:25], s[56:57], v[20:21]
	s_delay_alu instid0(VALU_DEP_1) | instskip(NEXT) | instid1(VALU_DEP_2)
	v_sub_nc_u32_e32 v3, v26, v25
	v_sub_co_u32 v17, vcc_lo, v22, v24
	s_delay_alu instid0(VALU_DEP_1) | instskip(NEXT) | instid1(VALU_DEP_3)
	v_sub_co_ci_u32_e64 v26, null, v26, v25, vcc_lo
	v_subrev_co_ci_u32_e64 v3, null, s57, v3, vcc_lo
	s_delay_alu instid0(VALU_DEP_3) | instskip(SKIP_1) | instid1(VALU_DEP_3)
	v_sub_co_u32 v22, s0, v17, s56
	v_add_nc_u64_e32 v[24:25], 1, v[20:21]
	v_subrev_co_ci_u32_e64 v3, null, 0, v3, s0
	s_delay_alu instid0(VALU_DEP_3) | instskip(SKIP_1) | instid1(VALU_DEP_3)
	v_cmp_le_u32_e32 vcc_lo, s56, v22
	v_cndmask_b32_e64 v22, 0, -1, vcc_lo
	v_cmp_le_u32_e32 vcc_lo, s57, v3
	v_cndmask_b32_e64 v23, 0, -1, vcc_lo
	;; [unrolled: 2-line block ×4, first 2 shown]
	v_cmp_eq_u32_e32 vcc_lo, s57, v3
	v_cndmask_b32_e32 v3, v23, v22, vcc_lo
	v_cmp_eq_u32_e32 vcc_lo, s57, v26
	v_add_nc_u64_e32 v[22:23], 2, v[20:21]
	v_cndmask_b32_e32 v17, v27, v17, vcc_lo
	s_delay_alu instid0(VALU_DEP_4) | instskip(NEXT) | instid1(VALU_DEP_3)
	v_cmp_ne_u32_e32 vcc_lo, 0, v3
	v_cndmask_b32_e32 v3, v25, v23, vcc_lo
	s_delay_alu instid0(VALU_DEP_3) | instskip(SKIP_1) | instid1(VALU_DEP_1)
	v_cmp_ne_u32_e64 s0, 0, v17
	v_dual_cndmask_b32 v17, v24, v22, vcc_lo :: v_dual_bitop2_b32 v16, s54, v16 bitop3:0x14
	v_dual_cndmask_b32 v3, v21, v3, s0 :: v_dual_cndmask_b32 v20, v20, v17, s0
	s_delay_alu instid0(VALU_DEP_1) | instskip(NEXT) | instid1(VALU_DEP_2)
	v_dual_mov_b32 v17, v16 :: v_dual_bitop2_b32 v21, v3, v16 bitop3:0x14
	v_xor_b32_e32 v20, v20, v16
	s_delay_alu instid0(VALU_DEP_1)
	v_sub_nc_u64_e32 v[16:17], v[20:21], v[16:17]
.LBB7_34:                               ;   in Loop: Header=BB7_4 Depth=1
	s_and_not1_saveexec_b32 s0, s1
	s_cbranch_execz .LBB7_36
; %bb.35:                               ;   in Loop: Header=BB7_4 Depth=1
	v_cvt_f32_u32_e32 v3, s20
	s_sub_co_i32 s1, 0, s20
	s_delay_alu instid0(VALU_DEP_1) | instskip(SKIP_1) | instid1(TRANS32_DEP_1)
	v_rcp_iflag_f32_e32 v3, v3
	v_nop
	v_mul_f32_e32 v3, 0x4f7ffffe, v3
	s_delay_alu instid0(VALU_DEP_1) | instskip(NEXT) | instid1(VALU_DEP_1)
	v_cvt_u32_f32_e32 v3, v3
	v_mul_lo_u32 v16, s1, v3
	s_delay_alu instid0(VALU_DEP_1) | instskip(NEXT) | instid1(VALU_DEP_1)
	v_mul_hi_u32 v16, v3, v16
	v_add_nc_u32_e32 v3, v3, v16
	s_delay_alu instid0(VALU_DEP_1) | instskip(NEXT) | instid1(VALU_DEP_1)
	v_mul_hi_u32 v3, v8, v3
	v_mul_lo_u32 v16, v3, s20
	s_delay_alu instid0(VALU_DEP_1) | instskip(NEXT) | instid1(VALU_DEP_1)
	v_sub_nc_u32_e32 v16, v8, v16
	v_subrev_nc_u32_e32 v20, s20, v16
	v_cmp_le_u32_e32 vcc_lo, s20, v16
	s_delay_alu instid0(VALU_DEP_2) | instskip(NEXT) | instid1(VALU_DEP_1)
	v_dual_cndmask_b32 v16, v16, v20 :: v_dual_add_nc_u32 v17, 1, v3
	v_cndmask_b32_e32 v3, v3, v17, vcc_lo
	s_delay_alu instid0(VALU_DEP_2) | instskip(NEXT) | instid1(VALU_DEP_2)
	v_cmp_le_u32_e32 vcc_lo, s20, v16
	v_add_nc_u32_e32 v17, 1, v3
	s_delay_alu instid0(VALU_DEP_1)
	v_dual_cndmask_b32 v16, v3, v17 :: v_dual_mov_b32 v17, v2
.LBB7_36:                               ;   in Loop: Header=BB7_4 Depth=1
	s_or_b32 exec_lo, exec_lo, s0
	s_delay_alu instid0(VALU_DEP_1) | instskip(SKIP_2) | instid1(VALU_DEP_2)
	v_add_nc_u64_e32 v[16:17], 1, v[16:17]
	v_mov_b32_e32 v33, 0
	s_mov_b32 s43, exec_lo
	v_min_i64 v[16:17], v[16:17], s[36:37]
	s_delay_alu instid0(VALU_DEP_1)
	v_cmpx_lt_i64_e64 v[14:15], v[16:17]
	s_cbranch_execz .LBB7_3
; %bb.37:                               ;   in Loop: Header=BB7_4 Depth=1
	v_add_nc_u64_e32 v[18:19], 1, v[18:19]
	v_mul_u64_e32 v[20:21], s[22:23], v[6:7]
	v_mul_u64_e32 v[10:11], s[12:13], v[10:11]
	v_add_nc_u64_e32 v[22:23], s[18:19], v[4:5]
	v_mov_b32_e32 v33, 0
	s_mov_b32 s58, 0
	v_min_i64 v[18:19], v[18:19], s[38:39]
	s_delay_alu instid0(VALU_DEP_3) | instskip(NEXT) | instid1(VALU_DEP_2)
	v_sub_nc_u64_e32 v[20:21], v[22:23], v[20:21]
	v_cmp_lt_i64_e64 s0, v[6:7], v[18:19]
	s_delay_alu instid0(VALU_DEP_2)
	v_sub_nc_u64_e32 v[12:13], v[20:21], v[12:13]
	v_lshl_add_u64 v[20:21], v[6:7], 2, s[6:7]
	s_branch .LBB7_40
.LBB7_38:                               ;   in Loop: Header=BB7_40 Depth=2
	s_or_b32 exec_lo, exec_lo, s60
.LBB7_39:                               ;   in Loop: Header=BB7_40 Depth=2
	s_delay_alu instid0(SALU_CYCLE_1) | instskip(SKIP_1) | instid1(VALU_DEP_1)
	s_or_b32 exec_lo, exec_lo, s59
	v_add_nc_u64_e32 v[14:15], 1, v[14:15]
	v_cmp_ge_i64_e32 vcc_lo, v[14:15], v[16:17]
	s_or_b32 s58, vcc_lo, s58
	s_delay_alu instid0(SALU_CYCLE_1)
	s_and_not1_b32 exec_lo, exec_lo, s58
	s_cbranch_execz .LBB7_2
.LBB7_40:                               ;   Parent Loop BB7_4 Depth=1
                                        ; =>  This Loop Header: Depth=2
                                        ;       Child Loop BB7_48 Depth 3
	s_delay_alu instid0(VALU_DEP_3)
	s_and_saveexec_b32 s59, s0
	s_cbranch_execz .LBB7_39
; %bb.41:                               ;   in Loop: Header=BB7_40 Depth=2
	v_mul_u64_e32 v[22:23], s[20:21], v[14:15]
	s_mov_b32 s1, exec_lo
	s_delay_alu instid0(VALU_DEP_1) | instskip(NEXT) | instid1(VALU_DEP_1)
	v_sub_nc_u64_e32 v[24:25], v[8:9], v[22:23]
                                        ; implicit-def: $vgpr22_vgpr23
	v_or_b32_e32 v3, s25, v25
	s_delay_alu instid0(VALU_DEP_1)
	v_cmpx_ne_u64_e32 0, v[2:3]
	s_xor_b32 s60, exec_lo, s1
	s_cbranch_execz .LBB7_43
; %bb.42:                               ;   in Loop: Header=BB7_40 Depth=2
	s_ashr_i32 s54, s25, 31
	v_dual_mov_b32 v29, v2 :: v_dual_ashrrev_i32 v22, 31, v25
	s_mov_b32 s55, s54
	v_mov_b32_e32 v35, v2
	s_add_nc_u64 s[56:57], s[24:25], s[54:55]
	s_delay_alu instid0(VALU_DEP_2)
	v_mov_b32_e32 v23, v22
	s_xor_b64 s[56:57], s[56:57], s[54:55]
	v_mov_b32_e32 v39, v2
	s_cvt_f32_u32 s1, s56
	s_cvt_f32_u32 s2, s57
	s_sub_nc_u64 s[64:65], 0, s[56:57]
	v_add_nc_u64_e32 v[26:27], v[24:25], v[22:23]
	s_delay_alu instid0(SALU_CYCLE_1) | instskip(NEXT) | instid1(SALU_CYCLE_3)
	s_fmamk_f32 s1, s2, 0x4f800000, s1
	v_s_rcp_f32 s1, s1
	s_delay_alu instid0(VALU_DEP_1) | instskip(NEXT) | instid1(VALU_DEP_2)
	v_xor_b32_e32 v28, v26, v22
	v_xor_b32_e32 v34, v27, v22
	;; [unrolled: 1-line block ×3, first 2 shown]
	s_delay_alu instid0(TRANS32_DEP_1) | instskip(NEXT) | instid1(SALU_CYCLE_3)
	s_mul_f32 s1, s1, 0x5f7ffffc
	s_mul_f32 s2, s1, 0x2f800000
	s_delay_alu instid0(SALU_CYCLE_3) | instskip(NEXT) | instid1(SALU_CYCLE_3)
	s_trunc_f32 s2, s2
	s_fmamk_f32 s1, s2, 0xcf800000, s1
	s_cvt_u32_f32 s63, s2
	s_delay_alu instid0(SALU_CYCLE_2) | instskip(NEXT) | instid1(SALU_CYCLE_3)
	s_cvt_u32_f32 s62, s1
	s_mul_u64 s[66:67], s[64:65], s[62:63]
	s_delay_alu instid0(SALU_CYCLE_1)
	s_mul_hi_u32 s69, s62, s67
	s_mul_i32 s68, s62, s67
	s_mul_hi_u32 s2, s62, s66
	s_mul_i32 s55, s63, s66
	s_add_nc_u64 s[68:69], s[2:3], s[68:69]
	s_mul_hi_u32 s1, s63, s66
	s_mul_hi_u32 s61, s63, s67
	s_add_co_u32 s2, s68, s55
	s_add_co_ci_u32 s2, s69, s1
	s_mul_i32 s66, s63, s67
	s_add_co_ci_u32 s67, s61, 0
	s_delay_alu instid0(SALU_CYCLE_1) | instskip(NEXT) | instid1(SALU_CYCLE_1)
	s_add_nc_u64 s[66:67], s[2:3], s[66:67]
	s_add_co_u32 s62, s62, s66
	s_cselect_b32 s1, -1, 0
	s_delay_alu instid0(SALU_CYCLE_1) | instskip(SKIP_1) | instid1(SALU_CYCLE_1)
	s_cmp_lg_u32 s1, 0
	s_add_co_ci_u32 s63, s63, s67
	s_mul_u64 s[64:65], s[64:65], s[62:63]
	s_delay_alu instid0(SALU_CYCLE_1)
	s_mul_hi_u32 s67, s62, s65
	s_mul_i32 s66, s62, s65
	s_mul_hi_u32 s2, s62, s64
	s_mul_i32 s55, s63, s64
	s_add_nc_u64 s[66:67], s[2:3], s[66:67]
	s_mul_hi_u32 s1, s63, s64
	s_mul_hi_u32 s61, s63, s65
	s_add_co_u32 s2, s66, s55
	s_add_co_ci_u32 s2, s67, s1
	s_mul_i32 s64, s63, s65
	s_add_co_ci_u32 s65, s61, 0
	s_delay_alu instid0(SALU_CYCLE_1) | instskip(NEXT) | instid1(SALU_CYCLE_1)
	s_add_nc_u64 s[64:65], s[2:3], s[64:65]
	s_add_co_u32 s62, s62, s64
	s_cselect_b32 s1, -1, 0
	v_mul_hi_u32 v38, v28, s62
	s_cmp_lg_u32 s1, 0
	s_add_co_ci_u32 s2, s63, s65
	s_and_b64 s[64:65], s[62:63], s[34:35]
	v_mul_u64_e32 v[30:31], s[2:3], v[28:29]
	v_mul_u64_e32 v[26:27], s[64:65], v[34:35]
	;; [unrolled: 1-line block ×3, first 2 shown]
	s_delay_alu instid0(VALU_DEP_3) | instskip(NEXT) | instid1(VALU_DEP_1)
	v_add_nc_u64_e32 v[30:31], v[38:39], v[30:31]
	v_add_co_u32 v3, vcc_lo, v30, v26
	s_delay_alu instid0(VALU_DEP_2) | instskip(NEXT) | instid1(VALU_DEP_4)
	v_add_co_ci_u32_e32 v38, vcc_lo, v31, v27, vcc_lo
	v_add_co_ci_u32_e32 v37, vcc_lo, 0, v37, vcc_lo
	s_delay_alu instid0(VALU_DEP_1) | instskip(NEXT) | instid1(VALU_DEP_1)
	v_add_nc_u64_e32 v[26:27], v[38:39], v[36:37]
	v_mul_u64_e32 v[30:31], s[56:57], v[26:27]
	s_delay_alu instid0(VALU_DEP_1) | instskip(NEXT) | instid1(VALU_DEP_2)
	v_sub_nc_u32_e32 v3, v34, v31
	v_sub_co_u32 v23, vcc_lo, v28, v30
	s_delay_alu instid0(VALU_DEP_1) | instskip(NEXT) | instid1(VALU_DEP_3)
	v_sub_co_ci_u32_e64 v34, null, v34, v31, vcc_lo
	v_subrev_co_ci_u32_e64 v3, null, s57, v3, vcc_lo
	s_delay_alu instid0(VALU_DEP_3) | instskip(SKIP_1) | instid1(VALU_DEP_3)
	v_sub_co_u32 v28, s1, v23, s56
	v_add_nc_u64_e32 v[30:31], 1, v[26:27]
	v_subrev_co_ci_u32_e64 v3, null, 0, v3, s1
	s_delay_alu instid0(VALU_DEP_3) | instskip(SKIP_1) | instid1(VALU_DEP_3)
	v_cmp_le_u32_e32 vcc_lo, s56, v28
	v_cndmask_b32_e64 v28, 0, -1, vcc_lo
	v_cmp_le_u32_e32 vcc_lo, s57, v3
	v_cndmask_b32_e64 v29, 0, -1, vcc_lo
	;; [unrolled: 2-line block ×4, first 2 shown]
	v_cmp_eq_u32_e32 vcc_lo, s57, v3
	v_cndmask_b32_e32 v3, v29, v28, vcc_lo
	v_cmp_eq_u32_e32 vcc_lo, s57, v34
	v_add_nc_u64_e32 v[28:29], 2, v[26:27]
	v_cndmask_b32_e32 v23, v35, v23, vcc_lo
	s_delay_alu instid0(VALU_DEP_4) | instskip(NEXT) | instid1(VALU_DEP_2)
	v_cmp_ne_u32_e32 vcc_lo, 0, v3
	v_cmp_ne_u32_e64 s1, 0, v23
	s_delay_alu instid0(VALU_DEP_4) | instskip(NEXT) | instid1(VALU_DEP_1)
	v_dual_cndmask_b32 v23, v30, v28, vcc_lo :: v_dual_cndmask_b32 v3, v31, v29, vcc_lo
	v_cndmask_b32_e64 v26, v26, v23, s1
	s_delay_alu instid0(VALU_DEP_2) | instskip(NEXT) | instid1(VALU_DEP_2)
	v_dual_cndmask_b32 v3, v27, v3, s1 :: v_dual_mov_b32 v23, v22
	v_xor_b32_e32 v26, v26, v22
	s_delay_alu instid0(VALU_DEP_2) | instskip(NEXT) | instid1(VALU_DEP_1)
	v_xor_b32_e32 v27, v3, v22
	v_sub_nc_u64_e32 v[22:23], v[26:27], v[22:23]
.LBB7_43:                               ;   in Loop: Header=BB7_40 Depth=2
	s_and_not1_saveexec_b32 s1, s60
	s_cbranch_execz .LBB7_45
; %bb.44:                               ;   in Loop: Header=BB7_40 Depth=2
	v_cvt_f32_u32_e32 v3, s24
	s_sub_co_i32 s2, 0, s24
	s_delay_alu instid0(VALU_DEP_1) | instskip(SKIP_1) | instid1(TRANS32_DEP_1)
	v_rcp_iflag_f32_e32 v3, v3
	v_nop
	v_mul_f32_e32 v3, 0x4f7ffffe, v3
	s_delay_alu instid0(VALU_DEP_1) | instskip(NEXT) | instid1(VALU_DEP_1)
	v_cvt_u32_f32_e32 v3, v3
	v_mul_lo_u32 v22, s2, v3
	s_delay_alu instid0(VALU_DEP_1) | instskip(NEXT) | instid1(VALU_DEP_1)
	v_mul_hi_u32 v22, v3, v22
	v_add_nc_u32_e32 v3, v3, v22
	s_delay_alu instid0(VALU_DEP_1) | instskip(NEXT) | instid1(VALU_DEP_1)
	v_mul_hi_u32 v3, v24, v3
	v_mul_lo_u32 v22, v3, s24
	s_delay_alu instid0(VALU_DEP_1) | instskip(NEXT) | instid1(VALU_DEP_1)
	v_sub_nc_u32_e32 v22, v24, v22
	v_subrev_nc_u32_e32 v26, s24, v22
	v_cmp_le_u32_e32 vcc_lo, s24, v22
	s_delay_alu instid0(VALU_DEP_2) | instskip(NEXT) | instid1(VALU_DEP_1)
	v_dual_cndmask_b32 v22, v22, v26 :: v_dual_add_nc_u32 v23, 1, v3
	v_cndmask_b32_e32 v3, v3, v23, vcc_lo
	s_delay_alu instid0(VALU_DEP_2) | instskip(NEXT) | instid1(VALU_DEP_2)
	v_cmp_le_u32_e32 vcc_lo, s24, v22
	v_add_nc_u32_e32 v23, 1, v3
	s_delay_alu instid0(VALU_DEP_1)
	v_dual_cndmask_b32 v22, v3, v23 :: v_dual_mov_b32 v23, v2
.LBB7_45:                               ;   in Loop: Header=BB7_40 Depth=2
	s_or_b32 exec_lo, exec_lo, s1
	s_delay_alu instid0(VALU_DEP_1) | instskip(SKIP_3) | instid1(VALU_DEP_2)
	v_mul_u64_e32 v[26:27], s[24:25], v[22:23]
	v_add_nc_u64_e32 v[22:23], v[22:23], v[10:11]
	v_mov_b64_e32 v[28:29], v[6:7]
	s_mov_b32 s60, 0
	v_mul_u64_e32 v[22:23], s[14:15], v[22:23]
	s_delay_alu instid0(VALU_DEP_4) | instskip(SKIP_1) | instid1(VALU_DEP_2)
	v_sub_nc_u64_e32 v[24:25], v[24:25], v[26:27]
	v_mov_b64_e32 v[26:27], v[20:21]
	v_cmp_eq_u64_e64 s1, 0, v[24:25]
	v_mov_b64_e32 v[24:25], v[12:13]
	s_branch .LBB7_48
.LBB7_46:                               ;   in Loop: Header=BB7_48 Depth=3
	s_wait_xcnt 0x0
	s_or_b32 exec_lo, exec_lo, s2
.LBB7_47:                               ;   in Loop: Header=BB7_48 Depth=3
	s_delay_alu instid0(SALU_CYCLE_1) | instskip(SKIP_3) | instid1(VALU_DEP_3)
	s_or_b32 exec_lo, exec_lo, s61
	v_add_nc_u64_e32 v[28:29], 1, v[28:29]
	v_add_nc_u64_e32 v[26:27], 4, v[26:27]
	v_sub_nc_u64_e64 v[24:25], v[24:25], s[22:23]
	v_cmp_ge_i64_e32 vcc_lo, v[28:29], v[18:19]
	s_or_b32 s60, vcc_lo, s60
	s_delay_alu instid0(SALU_CYCLE_1)
	s_and_not1_b32 exec_lo, exec_lo, s60
	s_cbranch_execz .LBB7_38
.LBB7_48:                               ;   Parent Loop BB7_4 Depth=1
                                        ;     Parent Loop BB7_40 Depth=2
                                        ; =>    This Inner Loop Header: Depth=3
	s_delay_alu instid0(VALU_DEP_2)
	s_and_saveexec_b32 s61, s1
	s_cbranch_execz .LBB7_47
; %bb.49:                               ;   in Loop: Header=BB7_48 Depth=3
	s_delay_alu instid0(VALU_DEP_1) | instskip(SKIP_1) | instid1(VALU_DEP_1)
	v_or_b32_e32 v3, s27, v25
                                        ; implicit-def: $vgpr30_vgpr31
	s_mov_b32 s2, exec_lo
	v_cmpx_ne_u64_e32 0, v[2:3]
	s_xor_b32 s62, exec_lo, s2
	s_cbranch_execz .LBB7_51
; %bb.50:                               ;   in Loop: Header=BB7_48 Depth=3
	s_ashr_i32 s54, s27, 31
	v_dual_mov_b32 v37, v2 :: v_dual_ashrrev_i32 v30, 31, v25
	s_mov_b32 s55, s54
	v_mov_b32_e32 v41, v2
	s_add_nc_u64 s[56:57], s[26:27], s[54:55]
	s_delay_alu instid0(VALU_DEP_2)
	v_mov_b32_e32 v31, v30
	s_xor_b64 s[56:57], s[56:57], s[54:55]
	v_mov_b32_e32 v45, v2
	s_cvt_f32_u32 s2, s56
	s_cvt_f32_u32 s55, s57
	s_sub_nc_u64 s[66:67], 0, s[56:57]
	v_add_nc_u64_e32 v[34:35], v[24:25], v[30:31]
	s_delay_alu instid0(SALU_CYCLE_1) | instskip(NEXT) | instid1(SALU_CYCLE_3)
	s_fmamk_f32 s2, s55, 0x4f800000, s2
	v_s_rcp_f32 s2, s2
	s_delay_alu instid0(VALU_DEP_1) | instskip(NEXT) | instid1(VALU_DEP_2)
	v_xor_b32_e32 v40, v35, v30
	v_xor_b32_e32 v36, v34, v30
	s_delay_alu instid0(TRANS32_DEP_1) | instskip(NEXT) | instid1(SALU_CYCLE_3)
	s_mul_f32 s2, s2, 0x5f7ffffc
	s_mul_f32 s55, s2, 0x2f800000
	s_delay_alu instid0(SALU_CYCLE_3) | instskip(NEXT) | instid1(SALU_CYCLE_3)
	s_trunc_f32 s55, s55
	s_fmamk_f32 s2, s55, 0xcf800000, s2
	s_cvt_u32_f32 s65, s55
	s_delay_alu instid0(SALU_CYCLE_2) | instskip(NEXT) | instid1(SALU_CYCLE_3)
	s_cvt_u32_f32 s64, s2
	s_mul_u64 s[68:69], s[66:67], s[64:65]
	s_delay_alu instid0(SALU_CYCLE_1)
	s_mul_hi_u32 s71, s64, s69
	s_mul_i32 s70, s64, s69
	s_mul_hi_u32 s2, s64, s68
	s_mul_i32 s63, s65, s68
	s_add_nc_u64 s[70:71], s[2:3], s[70:71]
	s_mul_hi_u32 s55, s65, s68
	s_mul_hi_u32 s72, s65, s69
	s_add_co_u32 s2, s70, s63
	s_add_co_ci_u32 s2, s71, s55
	s_mul_i32 s68, s65, s69
	s_add_co_ci_u32 s69, s72, 0
	s_delay_alu instid0(SALU_CYCLE_1) | instskip(NEXT) | instid1(SALU_CYCLE_1)
	s_add_nc_u64 s[68:69], s[2:3], s[68:69]
	s_add_co_u32 s64, s64, s68
	s_cselect_b32 s2, -1, 0
	s_delay_alu instid0(SALU_CYCLE_1) | instskip(SKIP_1) | instid1(SALU_CYCLE_1)
	s_cmp_lg_u32 s2, 0
	s_add_co_ci_u32 s65, s65, s69
	s_mul_u64 s[66:67], s[66:67], s[64:65]
	s_delay_alu instid0(SALU_CYCLE_1)
	s_mul_hi_u32 s69, s64, s67
	s_mul_i32 s68, s64, s67
	s_mul_hi_u32 s2, s64, s66
	s_mul_i32 s63, s65, s66
	s_add_nc_u64 s[68:69], s[2:3], s[68:69]
	s_mul_hi_u32 s55, s65, s66
	s_mul_hi_u32 s70, s65, s67
	s_add_co_u32 s2, s68, s63
	s_add_co_ci_u32 s2, s69, s55
	s_mul_i32 s66, s65, s67
	s_add_co_ci_u32 s67, s70, 0
	s_delay_alu instid0(SALU_CYCLE_1) | instskip(NEXT) | instid1(SALU_CYCLE_1)
	s_add_nc_u64 s[66:67], s[2:3], s[66:67]
	s_add_co_u32 s64, s64, s66
	s_cselect_b32 s2, -1, 0
	v_mul_hi_u32 v44, v36, s64
	s_cmp_lg_u32 s2, 0
	s_add_co_ci_u32 s2, s65, s67
	s_and_b64 s[66:67], s[64:65], s[34:35]
	v_mul_u64_e32 v[38:39], s[2:3], v[36:37]
	v_mul_u64_e32 v[34:35], s[66:67], v[40:41]
	v_mul_u64_e32 v[42:43], s[2:3], v[40:41]
	s_delay_alu instid0(VALU_DEP_3) | instskip(NEXT) | instid1(VALU_DEP_1)
	v_add_nc_u64_e32 v[38:39], v[44:45], v[38:39]
	v_add_co_u32 v3, vcc_lo, v38, v34
	s_delay_alu instid0(VALU_DEP_2) | instskip(NEXT) | instid1(VALU_DEP_4)
	v_add_co_ci_u32_e32 v44, vcc_lo, v39, v35, vcc_lo
	v_add_co_ci_u32_e32 v43, vcc_lo, 0, v43, vcc_lo
	s_delay_alu instid0(VALU_DEP_1) | instskip(NEXT) | instid1(VALU_DEP_1)
	v_add_nc_u64_e32 v[34:35], v[44:45], v[42:43]
	v_mul_u64_e32 v[38:39], s[56:57], v[34:35]
	s_delay_alu instid0(VALU_DEP_1) | instskip(NEXT) | instid1(VALU_DEP_2)
	v_sub_nc_u32_e32 v3, v40, v39
	v_sub_co_u32 v31, vcc_lo, v36, v38
	s_delay_alu instid0(VALU_DEP_1) | instskip(NEXT) | instid1(VALU_DEP_3)
	v_sub_co_ci_u32_e64 v40, null, v40, v39, vcc_lo
	v_subrev_co_ci_u32_e64 v3, null, s57, v3, vcc_lo
	s_delay_alu instid0(VALU_DEP_3) | instskip(SKIP_1) | instid1(VALU_DEP_3)
	v_sub_co_u32 v36, s2, v31, s56
	v_add_nc_u64_e32 v[38:39], 1, v[34:35]
	v_subrev_co_ci_u32_e64 v3, null, 0, v3, s2
	s_delay_alu instid0(VALU_DEP_3) | instskip(SKIP_1) | instid1(VALU_DEP_3)
	v_cmp_le_u32_e32 vcc_lo, s56, v36
	v_cndmask_b32_e64 v36, 0, -1, vcc_lo
	v_cmp_le_u32_e32 vcc_lo, s57, v3
	v_cndmask_b32_e64 v37, 0, -1, vcc_lo
	;; [unrolled: 2-line block ×4, first 2 shown]
	v_cmp_eq_u32_e32 vcc_lo, s57, v3
	v_cndmask_b32_e32 v3, v37, v36, vcc_lo
	v_cmp_eq_u32_e32 vcc_lo, s57, v40
	v_add_nc_u64_e32 v[36:37], 2, v[34:35]
	v_cndmask_b32_e32 v31, v41, v31, vcc_lo
	s_delay_alu instid0(VALU_DEP_4) | instskip(NEXT) | instid1(VALU_DEP_3)
	v_cmp_ne_u32_e32 vcc_lo, 0, v3
	v_cndmask_b32_e32 v3, v39, v37, vcc_lo
	s_delay_alu instid0(VALU_DEP_3) | instskip(SKIP_1) | instid1(VALU_DEP_2)
	v_cmp_ne_u32_e64 s2, 0, v31
	v_dual_cndmask_b32 v31, v38, v36, vcc_lo :: v_dual_bitop2_b32 v30, s54, v30 bitop3:0x14
	v_cndmask_b32_e64 v3, v35, v3, s2
	s_delay_alu instid0(VALU_DEP_2) | instskip(NEXT) | instid1(VALU_DEP_2)
	v_cndmask_b32_e64 v34, v34, v31, s2
	v_dual_mov_b32 v31, v30 :: v_dual_bitop2_b32 v35, v3, v30 bitop3:0x14
	s_delay_alu instid0(VALU_DEP_2) | instskip(NEXT) | instid1(VALU_DEP_1)
	v_xor_b32_e32 v34, v34, v30
	v_sub_nc_u64_e32 v[30:31], v[34:35], v[30:31]
.LBB7_51:                               ;   in Loop: Header=BB7_48 Depth=3
	s_and_not1_saveexec_b32 s2, s62
	s_cbranch_execz .LBB7_53
; %bb.52:                               ;   in Loop: Header=BB7_48 Depth=3
	v_cvt_f32_u32_e32 v3, s26
	s_sub_co_i32 s54, 0, s26
	s_delay_alu instid0(VALU_DEP_1) | instskip(SKIP_1) | instid1(TRANS32_DEP_1)
	v_rcp_iflag_f32_e32 v3, v3
	v_nop
	v_mul_f32_e32 v3, 0x4f7ffffe, v3
	s_delay_alu instid0(VALU_DEP_1) | instskip(NEXT) | instid1(VALU_DEP_1)
	v_cvt_u32_f32_e32 v3, v3
	v_mul_lo_u32 v30, s54, v3
	s_delay_alu instid0(VALU_DEP_1) | instskip(NEXT) | instid1(VALU_DEP_1)
	v_mul_hi_u32 v30, v3, v30
	v_add_nc_u32_e32 v3, v3, v30
	s_delay_alu instid0(VALU_DEP_1) | instskip(NEXT) | instid1(VALU_DEP_1)
	v_mul_hi_u32 v3, v24, v3
	v_mul_lo_u32 v30, v3, s26
	s_delay_alu instid0(VALU_DEP_1) | instskip(NEXT) | instid1(VALU_DEP_1)
	v_sub_nc_u32_e32 v30, v24, v30
	v_subrev_nc_u32_e32 v34, s26, v30
	v_cmp_le_u32_e32 vcc_lo, s26, v30
	s_delay_alu instid0(VALU_DEP_2) | instskip(NEXT) | instid1(VALU_DEP_1)
	v_dual_cndmask_b32 v30, v30, v34 :: v_dual_add_nc_u32 v31, 1, v3
	v_cndmask_b32_e32 v3, v3, v31, vcc_lo
	s_delay_alu instid0(VALU_DEP_2) | instskip(NEXT) | instid1(VALU_DEP_2)
	v_cmp_le_u32_e32 vcc_lo, s26, v30
	v_add_nc_u32_e32 v31, 1, v3
	s_delay_alu instid0(VALU_DEP_1)
	v_dual_cndmask_b32 v30, v3, v31 :: v_dual_mov_b32 v31, v2
.LBB7_53:                               ;   in Loop: Header=BB7_48 Depth=3
	s_or_b32 exec_lo, exec_lo, s2
	s_delay_alu instid0(VALU_DEP_1) | instskip(SKIP_1) | instid1(VALU_DEP_1)
	v_mul_u64_e32 v[34:35], s[26:27], v[30:31]
	s_mov_b32 s2, exec_lo
	v_sub_nc_u64_e32 v[34:35], v[24:25], v[34:35]
	s_delay_alu instid0(VALU_DEP_1)
	v_cmpx_eq_u64_e32 0, v[34:35]
	s_cbranch_execz .LBB7_46
; %bb.54:                               ;   in Loop: Header=BB7_48 Depth=3
	v_add_nc_u64_e32 v[30:31], v[22:23], v[30:31]
	s_delay_alu instid0(VALU_DEP_1) | instskip(NEXT) | instid1(VALU_DEP_1)
	v_mad_nc_u64_u32 v[34:35], v30, s36, v[14:15]
	v_mad_u32 v3, v31, s36, v35
	s_delay_alu instid0(VALU_DEP_2) | instskip(NEXT) | instid1(VALU_DEP_2)
	v_mad_nc_u64_u32 v[36:37], s48, v34, v[26:27]
	v_mad_u32 v3, v30, s37, v3
	s_delay_alu instid0(VALU_DEP_2) | instskip(NEXT) | instid1(VALU_DEP_1)
	v_mad_u32 v30, s49, v34, v37
	v_mad_u32 v37, s48, v3, v30
	global_load_b32 v3, v[36:37], off
	s_wait_loadcnt 0x0
	v_add_f32_e32 v33, v33, v3
	s_branch .LBB7_46
.LBB7_55:
	s_endpgm
	.section	.rodata,"a",@progbits
	.p2align	6, 0x0
	.amdhsa_kernel _ZN2at6native13col2im_kernelIffEEvlPKT_llllllllllllPS2_
		.amdhsa_group_segment_fixed_size 0
		.amdhsa_private_segment_fixed_size 0
		.amdhsa_kernarg_size 376
		.amdhsa_user_sgpr_count 2
		.amdhsa_user_sgpr_dispatch_ptr 0
		.amdhsa_user_sgpr_queue_ptr 0
		.amdhsa_user_sgpr_kernarg_segment_ptr 1
		.amdhsa_user_sgpr_dispatch_id 0
		.amdhsa_user_sgpr_kernarg_preload_length 0
		.amdhsa_user_sgpr_kernarg_preload_offset 0
		.amdhsa_user_sgpr_private_segment_size 0
		.amdhsa_wavefront_size32 1
		.amdhsa_uses_dynamic_stack 0
		.amdhsa_enable_private_segment 0
		.amdhsa_system_sgpr_workgroup_id_x 1
		.amdhsa_system_sgpr_workgroup_id_y 0
		.amdhsa_system_sgpr_workgroup_id_z 0
		.amdhsa_system_sgpr_workgroup_info 0
		.amdhsa_system_vgpr_workitem_id 0
		.amdhsa_next_free_vgpr 46
		.amdhsa_next_free_sgpr 73
		.amdhsa_named_barrier_count 0
		.amdhsa_reserve_vcc 1
		.amdhsa_float_round_mode_32 0
		.amdhsa_float_round_mode_16_64 0
		.amdhsa_float_denorm_mode_32 3
		.amdhsa_float_denorm_mode_16_64 3
		.amdhsa_fp16_overflow 0
		.amdhsa_memory_ordered 1
		.amdhsa_forward_progress 1
		.amdhsa_inst_pref_size 58
		.amdhsa_round_robin_scheduling 0
		.amdhsa_exception_fp_ieee_invalid_op 0
		.amdhsa_exception_fp_denorm_src 0
		.amdhsa_exception_fp_ieee_div_zero 0
		.amdhsa_exception_fp_ieee_overflow 0
		.amdhsa_exception_fp_ieee_underflow 0
		.amdhsa_exception_fp_ieee_inexact 0
		.amdhsa_exception_int_div_zero 0
	.end_amdhsa_kernel
	.section	.text._ZN2at6native13col2im_kernelIffEEvlPKT_llllllllllllPS2_,"axG",@progbits,_ZN2at6native13col2im_kernelIffEEvlPKT_llllllllllllPS2_,comdat
.Lfunc_end7:
	.size	_ZN2at6native13col2im_kernelIffEEvlPKT_llllllllllllPS2_, .Lfunc_end7-_ZN2at6native13col2im_kernelIffEEvlPKT_llllllllllllPS2_
                                        ; -- End function
	.set _ZN2at6native13col2im_kernelIffEEvlPKT_llllllllllllPS2_.num_vgpr, 46
	.set _ZN2at6native13col2im_kernelIffEEvlPKT_llllllllllllPS2_.num_agpr, 0
	.set _ZN2at6native13col2im_kernelIffEEvlPKT_llllllllllllPS2_.numbered_sgpr, 73
	.set _ZN2at6native13col2im_kernelIffEEvlPKT_llllllllllllPS2_.num_named_barrier, 0
	.set _ZN2at6native13col2im_kernelIffEEvlPKT_llllllllllllPS2_.private_seg_size, 0
	.set _ZN2at6native13col2im_kernelIffEEvlPKT_llllllllllllPS2_.uses_vcc, 1
	.set _ZN2at6native13col2im_kernelIffEEvlPKT_llllllllllllPS2_.uses_flat_scratch, 0
	.set _ZN2at6native13col2im_kernelIffEEvlPKT_llllllllllllPS2_.has_dyn_sized_stack, 0
	.set _ZN2at6native13col2im_kernelIffEEvlPKT_llllllllllllPS2_.has_recursion, 0
	.set _ZN2at6native13col2im_kernelIffEEvlPKT_llllllllllllPS2_.has_indirect_call, 0
	.section	.AMDGPU.csdata,"",@progbits
; Kernel info:
; codeLenInByte = 7400
; TotalNumSgprs: 75
; NumVgprs: 46
; ScratchSize: 0
; MemoryBound: 0
; FloatMode: 240
; IeeeMode: 1
; LDSByteSize: 0 bytes/workgroup (compile time only)
; SGPRBlocks: 0
; VGPRBlocks: 2
; NumSGPRsForWavesPerEU: 75
; NumVGPRsForWavesPerEU: 46
; NamedBarCnt: 0
; Occupancy: 16
; WaveLimiterHint : 0
; COMPUTE_PGM_RSRC2:SCRATCH_EN: 0
; COMPUTE_PGM_RSRC2:USER_SGPR: 2
; COMPUTE_PGM_RSRC2:TRAP_HANDLER: 0
; COMPUTE_PGM_RSRC2:TGID_X_EN: 1
; COMPUTE_PGM_RSRC2:TGID_Y_EN: 0
; COMPUTE_PGM_RSRC2:TGID_Z_EN: 0
; COMPUTE_PGM_RSRC2:TIDIG_COMP_CNT: 0
	.section	.text._ZN2at6native14vol2col_kernelIN3c104HalfEEEvlPKT_iiiiiiiiiiiiiiiiiiPS4_,"axG",@progbits,_ZN2at6native14vol2col_kernelIN3c104HalfEEEvlPKT_iiiiiiiiiiiiiiiiiiPS4_,comdat
	.protected	_ZN2at6native14vol2col_kernelIN3c104HalfEEEvlPKT_iiiiiiiiiiiiiiiiiiPS4_ ; -- Begin function _ZN2at6native14vol2col_kernelIN3c104HalfEEEvlPKT_iiiiiiiiiiiiiiiiiiPS4_
	.globl	_ZN2at6native14vol2col_kernelIN3c104HalfEEEvlPKT_iiiiiiiiiiiiiiiiiiPS4_
	.p2align	8
	.type	_ZN2at6native14vol2col_kernelIN3c104HalfEEEvlPKT_iiiiiiiiiiiiiiiiiiPS4_,@function
_ZN2at6native14vol2col_kernelIN3c104HalfEEEvlPKT_iiiiiiiiiiiiiiiiiiPS4_: ; @_ZN2at6native14vol2col_kernelIN3c104HalfEEEvlPKT_iiiiiiiiiiiiiiiiiiPS4_
; %bb.0:
	s_clause 0x1
	s_load_b32 s2, s[0:1], 0x6c
	s_load_b128 s[20:23], s[0:1], 0x0
	s_bfe_u32 s3, ttmp6, 0x4000c
	v_mov_b32_e32 v2, 0
	s_add_co_i32 s3, s3, 1
	s_and_b32 s4, ttmp6, 15
	s_mul_i32 s3, ttmp9, s3
	s_getreg_b32 s5, hwreg(HW_REG_IB_STS2, 6, 4)
	v_mov_b32_e32 v1, v2
	s_add_co_i32 s4, s4, s3
	s_mov_b32 s29, 0
	s_wait_kmcnt 0x0
	s_and_b32 s2, s2, 0xffff
	s_cmp_eq_u32 s5, 0
	s_cselect_b32 s3, ttmp9, s4
	s_delay_alu instid0(SALU_CYCLE_1) | instskip(SKIP_1) | instid1(VALU_DEP_1)
	v_mad_nc_u64_u32 v[0:1], s2, s3, v[0:1]
	s_mov_b32 s3, exec_lo
	v_cmpx_gt_i64_e64 s[20:21], v[0:1]
	s_cbranch_execz .LBB8_26
; %bb.1:
	s_clause 0x1
	s_load_b512 s[4:19], s[0:1], 0x10
	s_load_b128 s[24:27], s[0:1], 0x50
	s_wait_xcnt 0x0
	s_add_nc_u64 s[0:1], s[0:1], 0x60
	v_mov_b64_e32 v[4:5], s[22:23]
	s_load_b32 s3, s[0:1], 0x0
	s_mov_b32 s56, 0
	s_wait_kmcnt 0x0
	s_ashr_i32 s1, s7, 31
	s_mov_b32 s30, s25
	s_mov_b32 s0, s7
	v_cvt_f32_u32_e32 v3, s30
	s_ashr_i32 s47, s8, 31
	s_mov_b32 s46, s8
	s_ashr_i32 s49, s9, 31
	s_mov_b32 s48, s9
	v_rcp_iflag_f32_e32 v3, v3
	s_mul_u64 s[0:1], s[46:47], s[0:1]
	s_ashr_i32 s31, s25, 31
	s_ashr_i32 s35, s24, 31
	;; [unrolled: 1-line block ×4, first 2 shown]
	s_mov_b32 s38, s13
	s_ashr_i32 s41, s10, 31
	s_mov_b32 s40, s10
	s_ashr_i32 s43, s14, 31
	;; [unrolled: 2-line block ×5, first 2 shown]
	s_mul_u64 s[14:15], s[0:1], s[48:49]
	s_ashr_i32 s47, s4, 31
	s_ashr_i32 s49, s5, 31
	s_ashr_i32 s51, s6, 31
	s_cmp_gt_i32 s7, 0
	v_nop
	v_mul_f32_e32 v3, 0x4f7ffffe, v3
	s_mul_i32 s28, s24, s19
	s_mov_b32 s36, s19
	s_cselect_b32 s19, -1, 0
	s_cmp_gt_i32 s8, 0
	v_mov_b64_e32 v[6:7], s[26:27]
	s_cselect_b32 s33, -1, 0
	s_cmp_gt_i32 s9, 0
	s_mul_i32 s0, s28, s25
	v_cvt_u32_f32_e32 v14, v3
	s_cselect_b32 s54, -1, 0
	s_ashr_i32 s1, s0, 31
	s_mul_i32 s55, s16, s6
	s_mov_b32 s34, s24
	s_mov_b32 s46, s4
	;; [unrolled: 1-line block ×4, first 2 shown]
	s_mul_i32 s24, s3, s2
	s_mov_b32 s25, s29
	s_lshl_b64 s[52:53], s[0:1], 1
	s_mul_i32 s55, s55, s5
	s_mov_b64 s[4:5], 0xffffffff
	s_mul_i32 s6, s17, s6
	s_ashr_i32 s22, s31, 31
	s_branch .LBB8_3
.LBB8_2:                                ;   in Loop: Header=BB8_3 Depth=1
	v_add_nc_u64_e32 v[0:1], s[24:25], v[0:1]
	s_delay_alu instid0(VALU_DEP_1) | instskip(SKIP_1) | instid1(SALU_CYCLE_1)
	v_cmp_le_i64_e32 vcc_lo, s[20:21], v[0:1]
	s_or_b32 s56, vcc_lo, s56
	s_and_not1_b32 exec_lo, exec_lo, s56
	s_cbranch_execz .LBB8_26
.LBB8_3:                                ; =>This Loop Header: Depth=1
                                        ;     Child Loop BB8_18 Depth 2
                                        ;       Child Loop BB8_21 Depth 3
                                        ;         Child Loop BB8_24 Depth 4
	v_or_b32_e32 v3, s31, v1
                                        ; implicit-def: $vgpr8_vgpr9
	s_mov_b32 s0, exec_lo
	s_delay_alu instid0(VALU_DEP_1)
	v_cmpx_ne_u64_e32 0, v[2:3]
	s_xor_b32 s1, exec_lo, s0
	s_cbranch_execz .LBB8_5
; %bb.4:                                ;   in Loop: Header=BB8_3 Depth=1
	s_mov_b32 s23, s22
	v_dual_mov_b32 v13, v2 :: v_dual_ashrrev_i32 v8, 31, v1
	s_add_nc_u64 s[2:3], s[30:31], s[22:23]
	v_mov_b32_e32 v23, v2
	s_xor_b64 s[2:3], s[2:3], s[22:23]
	s_delay_alu instid0(VALU_DEP_2) | instskip(SKIP_3) | instid1(VALU_DEP_1)
	v_mov_b32_e32 v9, v8
	s_cvt_f32_u32 s0, s2
	s_cvt_f32_u32 s23, s3
	s_sub_nc_u64 s[58:59], 0, s[2:3]
	v_add_nc_u64_e32 v[10:11], v[0:1], v[8:9]
	s_delay_alu instid0(SALU_CYCLE_1) | instskip(SKIP_1) | instid1(SALU_CYCLE_2)
	s_fmamk_f32 s0, s23, 0x4f800000, s0
	v_mov_b32_e32 v19, v2
	v_s_rcp_f32 s0, s0
	s_delay_alu instid0(VALU_DEP_2) | instskip(NEXT) | instid1(VALU_DEP_3)
	v_xor_b32_e32 v12, v10, v8
	v_xor_b32_e32 v18, v11, v8
	;; [unrolled: 1-line block ×3, first 2 shown]
	s_delay_alu instid0(TRANS32_DEP_1) | instskip(NEXT) | instid1(SALU_CYCLE_3)
	s_mul_f32 s0, s0, 0x5f7ffffc
	s_mul_f32 s23, s0, 0x2f800000
	s_delay_alu instid0(SALU_CYCLE_3) | instskip(NEXT) | instid1(SALU_CYCLE_3)
	s_trunc_f32 s23, s23
	s_fmamk_f32 s0, s23, 0xcf800000, s0
	s_cvt_u32_f32 s27, s23
	s_delay_alu instid0(SALU_CYCLE_2) | instskip(NEXT) | instid1(SALU_CYCLE_3)
	s_cvt_u32_f32 s26, s0
	s_mul_u64 s[60:61], s[58:59], s[26:27]
	s_delay_alu instid0(SALU_CYCLE_1)
	s_mul_hi_u32 s63, s26, s61
	s_mul_i32 s62, s26, s61
	s_mul_hi_u32 s28, s26, s60
	s_mul_i32 s23, s27, s60
	s_add_nc_u64 s[62:63], s[28:29], s[62:63]
	s_mul_hi_u32 s0, s27, s60
	s_mul_hi_u32 s57, s27, s61
	s_add_co_u32 s23, s62, s23
	s_add_co_ci_u32 s28, s63, s0
	s_mul_i32 s60, s27, s61
	s_add_co_ci_u32 s61, s57, 0
	s_delay_alu instid0(SALU_CYCLE_1) | instskip(NEXT) | instid1(SALU_CYCLE_1)
	s_add_nc_u64 s[60:61], s[28:29], s[60:61]
	s_add_co_u32 s26, s26, s60
	s_cselect_b32 s0, -1, 0
	s_delay_alu instid0(SALU_CYCLE_1) | instskip(SKIP_1) | instid1(SALU_CYCLE_1)
	s_cmp_lg_u32 s0, 0
	s_add_co_ci_u32 s27, s27, s61
	s_mul_u64 s[58:59], s[58:59], s[26:27]
	s_delay_alu instid0(SALU_CYCLE_1)
	s_mul_hi_u32 s61, s26, s59
	s_mul_i32 s60, s26, s59
	s_mul_hi_u32 s28, s26, s58
	s_mul_i32 s23, s27, s58
	s_add_nc_u64 s[60:61], s[28:29], s[60:61]
	s_mul_hi_u32 s0, s27, s58
	s_mul_hi_u32 s57, s27, s59
	s_add_co_u32 s23, s60, s23
	s_add_co_ci_u32 s28, s61, s0
	s_mul_i32 s58, s27, s59
	s_add_co_ci_u32 s59, s57, 0
	s_delay_alu instid0(SALU_CYCLE_1) | instskip(NEXT) | instid1(SALU_CYCLE_1)
	s_add_nc_u64 s[58:59], s[28:29], s[58:59]
	s_add_co_u32 s0, s26, s58
	s_cselect_b32 s23, -1, 0
	v_mul_hi_u32 v22, v12, s0
	s_cmp_lg_u32 s23, 0
	s_add_co_ci_u32 s28, s27, s59
	s_and_b64 s[26:27], s[0:1], s[4:5]
	v_mul_u64_e32 v[16:17], s[28:29], v[12:13]
	v_mul_u64_e32 v[10:11], s[26:27], v[18:19]
	;; [unrolled: 1-line block ×3, first 2 shown]
	s_delay_alu instid0(VALU_DEP_3) | instskip(NEXT) | instid1(VALU_DEP_1)
	v_add_nc_u64_e32 v[16:17], v[22:23], v[16:17]
	v_add_co_u32 v3, vcc_lo, v16, v10
	s_delay_alu instid0(VALU_DEP_2) | instskip(NEXT) | instid1(VALU_DEP_4)
	v_add_co_ci_u32_e32 v22, vcc_lo, v17, v11, vcc_lo
	v_add_co_ci_u32_e32 v21, vcc_lo, 0, v21, vcc_lo
	s_delay_alu instid0(VALU_DEP_1) | instskip(NEXT) | instid1(VALU_DEP_1)
	v_add_nc_u64_e32 v[10:11], v[22:23], v[20:21]
	v_mul_u64_e32 v[16:17], s[2:3], v[10:11]
	s_delay_alu instid0(VALU_DEP_1) | instskip(NEXT) | instid1(VALU_DEP_2)
	v_sub_nc_u32_e32 v3, v18, v17
	v_sub_co_u32 v9, vcc_lo, v12, v16
	s_delay_alu instid0(VALU_DEP_1) | instskip(NEXT) | instid1(VALU_DEP_3)
	v_sub_co_ci_u32_e64 v15, null, v18, v17, vcc_lo
	v_subrev_co_ci_u32_e64 v3, null, s3, v3, vcc_lo
	s_delay_alu instid0(VALU_DEP_3) | instskip(SKIP_1) | instid1(VALU_DEP_3)
	v_sub_co_u32 v12, s0, v9, s2
	v_add_nc_u64_e32 v[16:17], 1, v[10:11]
	v_subrev_co_ci_u32_e64 v3, null, 0, v3, s0
	s_delay_alu instid0(VALU_DEP_3) | instskip(SKIP_1) | instid1(VALU_DEP_3)
	v_cmp_le_u32_e32 vcc_lo, s2, v12
	v_cndmask_b32_e64 v12, 0, -1, vcc_lo
	v_cmp_le_u32_e32 vcc_lo, s3, v3
	v_cndmask_b32_e64 v13, 0, -1, vcc_lo
	;; [unrolled: 2-line block ×4, first 2 shown]
	v_cmp_eq_u32_e32 vcc_lo, s3, v3
	v_cndmask_b32_e32 v3, v13, v12, vcc_lo
	v_cmp_eq_u32_e32 vcc_lo, s3, v15
	v_add_nc_u64_e32 v[12:13], 2, v[10:11]
	v_cndmask_b32_e32 v9, v18, v9, vcc_lo
	s_delay_alu instid0(VALU_DEP_4) | instskip(NEXT) | instid1(VALU_DEP_2)
	v_cmp_ne_u32_e32 vcc_lo, 0, v3
	v_cmp_ne_u32_e64 s0, 0, v9
	s_delay_alu instid0(VALU_DEP_4) | instskip(NEXT) | instid1(VALU_DEP_1)
	v_dual_cndmask_b32 v3, v17, v13, vcc_lo :: v_dual_cndmask_b32 v9, v16, v12, vcc_lo
	v_dual_cndmask_b32 v10, v10, v9, s0 :: v_dual_mov_b32 v9, v8
	s_delay_alu instid0(VALU_DEP_1) | instskip(NEXT) | instid1(VALU_DEP_1)
	v_dual_cndmask_b32 v3, v11, v3, s0 :: v_dual_bitop2_b32 v10, v10, v8 bitop3:0x14
	v_xor_b32_e32 v11, v3, v8
	s_delay_alu instid0(VALU_DEP_1)
	v_sub_nc_u64_e32 v[8:9], v[10:11], v[8:9]
.LBB8_5:                                ;   in Loop: Header=BB8_3 Depth=1
	s_and_not1_saveexec_b32 s0, s1
	s_cbranch_execz .LBB8_7
; %bb.6:                                ;   in Loop: Header=BB8_3 Depth=1
	s_sub_co_i32 s1, 0, s30
	s_delay_alu instid0(SALU_CYCLE_1) | instskip(NEXT) | instid1(VALU_DEP_1)
	v_mul_lo_u32 v3, s1, v14
	v_mul_hi_u32 v3, v14, v3
	s_delay_alu instid0(VALU_DEP_1) | instskip(NEXT) | instid1(VALU_DEP_1)
	v_add_nc_u32_e32 v3, v14, v3
	v_mul_hi_u32 v3, v0, v3
	s_delay_alu instid0(VALU_DEP_1) | instskip(NEXT) | instid1(VALU_DEP_1)
	v_mul_lo_u32 v8, v3, s30
	v_sub_nc_u32_e32 v8, v0, v8
	s_delay_alu instid0(VALU_DEP_1) | instskip(SKIP_1) | instid1(VALU_DEP_2)
	v_subrev_nc_u32_e32 v10, s30, v8
	v_cmp_le_u32_e32 vcc_lo, s30, v8
	v_dual_cndmask_b32 v8, v8, v10 :: v_dual_add_nc_u32 v9, 1, v3
	s_delay_alu instid0(VALU_DEP_1) | instskip(NEXT) | instid1(VALU_DEP_2)
	v_cndmask_b32_e32 v3, v3, v9, vcc_lo
	v_cmp_le_u32_e32 vcc_lo, s30, v8
	s_delay_alu instid0(VALU_DEP_2) | instskip(NEXT) | instid1(VALU_DEP_1)
	v_add_nc_u32_e32 v9, 1, v3
	v_dual_cndmask_b32 v8, v3, v9 :: v_dual_mov_b32 v9, v2
.LBB8_7:                                ;   in Loop: Header=BB8_3 Depth=1
	s_or_b32 exec_lo, exec_lo, s0
	s_delay_alu instid0(VALU_DEP_1) | instskip(SKIP_1) | instid1(VALU_DEP_1)
	v_or_b32_e32 v3, s35, v9
                                        ; implicit-def: $vgpr10_vgpr11
	s_mov_b32 s0, exec_lo
	v_cmpx_ne_u64_e32 0, v[2:3]
	s_xor_b32 s1, exec_lo, s0
	s_cbranch_execz .LBB8_9
; %bb.8:                                ;   in Loop: Header=BB8_3 Depth=1
	s_ashr_i32 s2, s35, 31
	v_dual_mov_b32 v17, v2 :: v_dual_ashrrev_i32 v10, 31, v9
	s_mov_b32 s3, s2
	s_delay_alu instid0(SALU_CYCLE_1) | instskip(NEXT) | instid1(VALU_DEP_1)
	s_add_nc_u64 s[26:27], s[34:35], s[2:3]
	v_mov_b32_e32 v11, v10
	s_xor_b64 s[26:27], s[26:27], s[2:3]
	s_delay_alu instid0(SALU_CYCLE_1)
	s_cvt_f32_u32 s0, s26
	s_cvt_f32_u32 s3, s27
	s_sub_nc_u64 s[60:61], 0, s[26:27]
	v_add_nc_u64_e32 v[12:13], v[8:9], v[10:11]
	v_mov_b32_e32 v21, v2
	s_fmamk_f32 s0, s3, 0x4f800000, s0
	s_delay_alu instid0(SALU_CYCLE_3) | instskip(NEXT) | instid1(VALU_DEP_2)
	v_s_rcp_f32 s0, s0
	v_xor_b32_e32 v16, v12, v10
	s_delay_alu instid0(VALU_DEP_3) | instskip(NEXT) | instid1(TRANS32_DEP_1)
	v_dual_mov_b32 v25, v2 :: v_dual_bitop2_b32 v20, v13, v10 bitop3:0x14
	s_mul_f32 s0, s0, 0x5f7ffffc
	s_delay_alu instid0(SALU_CYCLE_3) | instskip(NEXT) | instid1(SALU_CYCLE_3)
	s_mul_f32 s3, s0, 0x2f800000
	s_trunc_f32 s3, s3
	s_delay_alu instid0(SALU_CYCLE_3) | instskip(SKIP_1) | instid1(SALU_CYCLE_2)
	s_fmamk_f32 s0, s3, 0xcf800000, s0
	s_cvt_u32_f32 s59, s3
	s_cvt_u32_f32 s58, s0
	s_delay_alu instid0(SALU_CYCLE_3) | instskip(NEXT) | instid1(SALU_CYCLE_1)
	s_mul_u64 s[62:63], s[60:61], s[58:59]
	s_mul_hi_u32 s65, s58, s63
	s_mul_i32 s64, s58, s63
	s_mul_hi_u32 s28, s58, s62
	s_mul_i32 s3, s59, s62
	s_add_nc_u64 s[64:65], s[28:29], s[64:65]
	s_mul_hi_u32 s0, s59, s62
	s_mul_hi_u32 s23, s59, s63
	s_add_co_u32 s3, s64, s3
	s_add_co_ci_u32 s28, s65, s0
	s_mul_i32 s62, s59, s63
	s_add_co_ci_u32 s63, s23, 0
	s_delay_alu instid0(SALU_CYCLE_1) | instskip(NEXT) | instid1(SALU_CYCLE_1)
	s_add_nc_u64 s[62:63], s[28:29], s[62:63]
	s_add_co_u32 s58, s58, s62
	s_cselect_b32 s0, -1, 0
	s_delay_alu instid0(SALU_CYCLE_1) | instskip(SKIP_1) | instid1(SALU_CYCLE_1)
	s_cmp_lg_u32 s0, 0
	s_add_co_ci_u32 s59, s59, s63
	s_mul_u64 s[60:61], s[60:61], s[58:59]
	s_delay_alu instid0(SALU_CYCLE_1)
	s_mul_hi_u32 s63, s58, s61
	s_mul_i32 s62, s58, s61
	s_mul_hi_u32 s28, s58, s60
	s_mul_i32 s3, s59, s60
	s_add_nc_u64 s[62:63], s[28:29], s[62:63]
	s_mul_hi_u32 s0, s59, s60
	s_mul_hi_u32 s23, s59, s61
	s_add_co_u32 s3, s62, s3
	s_add_co_ci_u32 s28, s63, s0
	s_mul_i32 s60, s59, s61
	s_add_co_ci_u32 s61, s23, 0
	s_delay_alu instid0(SALU_CYCLE_1) | instskip(NEXT) | instid1(SALU_CYCLE_1)
	s_add_nc_u64 s[60:61], s[28:29], s[60:61]
	s_add_co_u32 s0, s58, s60
	s_cselect_b32 s3, -1, 0
	v_mul_hi_u32 v24, v16, s0
	s_cmp_lg_u32 s3, 0
	s_add_co_ci_u32 s28, s59, s61
	s_and_b64 s[58:59], s[0:1], s[4:5]
	v_mul_u64_e32 v[18:19], s[28:29], v[16:17]
	v_mul_u64_e32 v[12:13], s[58:59], v[20:21]
	;; [unrolled: 1-line block ×3, first 2 shown]
	s_delay_alu instid0(VALU_DEP_3) | instskip(NEXT) | instid1(VALU_DEP_1)
	v_add_nc_u64_e32 v[18:19], v[24:25], v[18:19]
	v_add_co_u32 v3, vcc_lo, v18, v12
	s_delay_alu instid0(VALU_DEP_2) | instskip(NEXT) | instid1(VALU_DEP_4)
	v_add_co_ci_u32_e32 v24, vcc_lo, v19, v13, vcc_lo
	v_add_co_ci_u32_e32 v23, vcc_lo, 0, v23, vcc_lo
	s_delay_alu instid0(VALU_DEP_1) | instskip(NEXT) | instid1(VALU_DEP_1)
	v_add_nc_u64_e32 v[12:13], v[24:25], v[22:23]
	v_mul_u64_e32 v[18:19], s[26:27], v[12:13]
	s_delay_alu instid0(VALU_DEP_1) | instskip(NEXT) | instid1(VALU_DEP_2)
	v_sub_nc_u32_e32 v3, v20, v19
	v_sub_co_u32 v11, vcc_lo, v16, v18
	s_delay_alu instid0(VALU_DEP_1) | instskip(NEXT) | instid1(VALU_DEP_3)
	v_sub_co_ci_u32_e64 v20, null, v20, v19, vcc_lo
	v_subrev_co_ci_u32_e64 v3, null, s27, v3, vcc_lo
	s_delay_alu instid0(VALU_DEP_3) | instskip(SKIP_1) | instid1(VALU_DEP_3)
	v_sub_co_u32 v15, s0, v11, s26
	v_add_nc_u64_e32 v[18:19], 1, v[12:13]
	v_subrev_co_ci_u32_e64 v3, null, 0, v3, s0
	s_delay_alu instid0(VALU_DEP_3) | instskip(SKIP_1) | instid1(VALU_DEP_3)
	v_cmp_le_u32_e32 vcc_lo, s26, v15
	v_cndmask_b32_e64 v15, 0, -1, vcc_lo
	v_cmp_le_u32_e32 vcc_lo, s27, v3
	v_cndmask_b32_e64 v16, 0, -1, vcc_lo
	;; [unrolled: 2-line block ×4, first 2 shown]
	v_cmp_eq_u32_e32 vcc_lo, s27, v3
	v_cndmask_b32_e32 v3, v16, v15, vcc_lo
	v_cmp_eq_u32_e32 vcc_lo, s27, v20
	v_add_nc_u64_e32 v[16:17], 2, v[12:13]
	v_cndmask_b32_e32 v11, v21, v11, vcc_lo
	s_delay_alu instid0(VALU_DEP_4) | instskip(NEXT) | instid1(VALU_DEP_3)
	v_cmp_ne_u32_e32 vcc_lo, 0, v3
	v_cndmask_b32_e32 v3, v19, v17, vcc_lo
	s_delay_alu instid0(VALU_DEP_3) | instskip(SKIP_1) | instid1(VALU_DEP_2)
	v_cmp_ne_u32_e64 s0, 0, v11
	v_dual_cndmask_b32 v11, v18, v16, vcc_lo :: v_dual_bitop2_b32 v10, s2, v10 bitop3:0x14
	v_cndmask_b32_e64 v3, v13, v3, s0
	s_delay_alu instid0(VALU_DEP_2) | instskip(NEXT) | instid1(VALU_DEP_2)
	v_dual_cndmask_b32 v12, v12, v11, s0 :: v_dual_mov_b32 v11, v10
	v_xor_b32_e32 v13, v3, v10
	s_delay_alu instid0(VALU_DEP_2) | instskip(NEXT) | instid1(VALU_DEP_1)
	v_xor_b32_e32 v12, v12, v10
	v_sub_nc_u64_e32 v[10:11], v[12:13], v[10:11]
.LBB8_9:                                ;   in Loop: Header=BB8_3 Depth=1
	s_and_not1_saveexec_b32 s0, s1
	s_cbranch_execz .LBB8_11
; %bb.10:                               ;   in Loop: Header=BB8_3 Depth=1
	v_cvt_f32_u32_e32 v3, s34
	s_sub_co_i32 s1, 0, s34
	s_delay_alu instid0(VALU_DEP_1) | instskip(SKIP_1) | instid1(TRANS32_DEP_1)
	v_rcp_iflag_f32_e32 v3, v3
	v_nop
	v_mul_f32_e32 v3, 0x4f7ffffe, v3
	s_delay_alu instid0(VALU_DEP_1) | instskip(NEXT) | instid1(VALU_DEP_1)
	v_cvt_u32_f32_e32 v3, v3
	v_mul_lo_u32 v10, s1, v3
	s_delay_alu instid0(VALU_DEP_1) | instskip(NEXT) | instid1(VALU_DEP_1)
	v_mul_hi_u32 v10, v3, v10
	v_add_nc_u32_e32 v3, v3, v10
	s_delay_alu instid0(VALU_DEP_1) | instskip(NEXT) | instid1(VALU_DEP_1)
	v_mul_hi_u32 v3, v8, v3
	v_mul_lo_u32 v10, v3, s34
	s_delay_alu instid0(VALU_DEP_1) | instskip(NEXT) | instid1(VALU_DEP_1)
	v_dual_add_nc_u32 v11, 1, v3 :: v_dual_sub_nc_u32 v10, v8, v10
	v_subrev_nc_u32_e32 v12, s34, v10
	v_cmp_le_u32_e32 vcc_lo, s34, v10
	s_delay_alu instid0(VALU_DEP_2) | instskip(NEXT) | instid1(VALU_DEP_1)
	v_dual_cndmask_b32 v10, v10, v12 :: v_dual_cndmask_b32 v3, v3, v11
	v_cmp_le_u32_e32 vcc_lo, s34, v10
	s_delay_alu instid0(VALU_DEP_2) | instskip(NEXT) | instid1(VALU_DEP_1)
	v_add_nc_u32_e32 v11, 1, v3
	v_dual_cndmask_b32 v10, v3, v11 :: v_dual_mov_b32 v11, v2
.LBB8_11:                               ;   in Loop: Header=BB8_3 Depth=1
	s_or_b32 exec_lo, exec_lo, s0
	s_delay_alu instid0(VALU_DEP_1) | instskip(SKIP_1) | instid1(VALU_DEP_1)
	v_or_b32_e32 v3, s37, v11
                                        ; implicit-def: $vgpr12_vgpr13
	s_mov_b32 s0, exec_lo
	v_cmpx_ne_u64_e32 0, v[2:3]
	s_xor_b32 s1, exec_lo, s0
	s_cbranch_execz .LBB8_13
; %bb.12:                               ;   in Loop: Header=BB8_3 Depth=1
	s_ashr_i32 s2, s37, 31
	v_dual_mov_b32 v19, v2 :: v_dual_ashrrev_i32 v12, 31, v11
	s_mov_b32 s3, s2
	v_mov_b32_e32 v23, v2
	s_add_nc_u64 s[26:27], s[36:37], s[2:3]
	s_delay_alu instid0(VALU_DEP_2)
	v_mov_b32_e32 v13, v12
	s_xor_b64 s[26:27], s[26:27], s[2:3]
	v_mov_b32_e32 v27, v2
	s_cvt_f32_u32 s0, s26
	s_cvt_f32_u32 s3, s27
	s_sub_nc_u64 s[60:61], 0, s[26:27]
	v_add_nc_u64_e32 v[16:17], v[10:11], v[12:13]
	s_delay_alu instid0(SALU_CYCLE_1) | instskip(NEXT) | instid1(SALU_CYCLE_3)
	s_fmamk_f32 s0, s3, 0x4f800000, s0
	v_s_rcp_f32 s0, s0
	s_delay_alu instid0(VALU_DEP_1) | instskip(NEXT) | instid1(VALU_DEP_2)
	v_xor_b32_e32 v18, v16, v12
	v_xor_b32_e32 v22, v17, v12
	s_delay_alu instid0(TRANS32_DEP_1) | instskip(NEXT) | instid1(SALU_CYCLE_3)
	s_mul_f32 s0, s0, 0x5f7ffffc
	s_mul_f32 s3, s0, 0x2f800000
	s_delay_alu instid0(SALU_CYCLE_3) | instskip(NEXT) | instid1(SALU_CYCLE_3)
	s_trunc_f32 s3, s3
	s_fmamk_f32 s0, s3, 0xcf800000, s0
	s_cvt_u32_f32 s59, s3
	s_delay_alu instid0(SALU_CYCLE_2) | instskip(NEXT) | instid1(SALU_CYCLE_3)
	s_cvt_u32_f32 s58, s0
	s_mul_u64 s[62:63], s[60:61], s[58:59]
	s_delay_alu instid0(SALU_CYCLE_1)
	s_mul_hi_u32 s65, s58, s63
	s_mul_i32 s64, s58, s63
	s_mul_hi_u32 s28, s58, s62
	s_mul_i32 s3, s59, s62
	s_add_nc_u64 s[64:65], s[28:29], s[64:65]
	s_mul_hi_u32 s0, s59, s62
	s_mul_hi_u32 s23, s59, s63
	s_add_co_u32 s3, s64, s3
	s_add_co_ci_u32 s28, s65, s0
	s_mul_i32 s62, s59, s63
	s_add_co_ci_u32 s63, s23, 0
	s_delay_alu instid0(SALU_CYCLE_1) | instskip(NEXT) | instid1(SALU_CYCLE_1)
	s_add_nc_u64 s[62:63], s[28:29], s[62:63]
	s_add_co_u32 s58, s58, s62
	s_cselect_b32 s0, -1, 0
	s_delay_alu instid0(SALU_CYCLE_1) | instskip(SKIP_1) | instid1(SALU_CYCLE_1)
	s_cmp_lg_u32 s0, 0
	s_add_co_ci_u32 s59, s59, s63
	s_mul_u64 s[60:61], s[60:61], s[58:59]
	s_delay_alu instid0(SALU_CYCLE_1)
	s_mul_hi_u32 s63, s58, s61
	s_mul_i32 s62, s58, s61
	s_mul_hi_u32 s28, s58, s60
	s_mul_i32 s3, s59, s60
	s_add_nc_u64 s[62:63], s[28:29], s[62:63]
	s_mul_hi_u32 s0, s59, s60
	s_mul_hi_u32 s23, s59, s61
	s_add_co_u32 s3, s62, s3
	s_add_co_ci_u32 s28, s63, s0
	s_mul_i32 s60, s59, s61
	s_add_co_ci_u32 s61, s23, 0
	s_delay_alu instid0(SALU_CYCLE_1) | instskip(NEXT) | instid1(SALU_CYCLE_1)
	s_add_nc_u64 s[60:61], s[28:29], s[60:61]
	s_add_co_u32 s0, s58, s60
	s_cselect_b32 s3, -1, 0
	v_mul_hi_u32 v26, v18, s0
	s_cmp_lg_u32 s3, 0
	s_add_co_ci_u32 s28, s59, s61
	s_and_b64 s[58:59], s[0:1], s[4:5]
	v_mul_u64_e32 v[20:21], s[28:29], v[18:19]
	v_mul_u64_e32 v[16:17], s[58:59], v[22:23]
	;; [unrolled: 1-line block ×3, first 2 shown]
	s_delay_alu instid0(VALU_DEP_3) | instskip(NEXT) | instid1(VALU_DEP_1)
	v_add_nc_u64_e32 v[20:21], v[26:27], v[20:21]
	v_add_co_u32 v3, vcc_lo, v20, v16
	s_delay_alu instid0(VALU_DEP_2) | instskip(NEXT) | instid1(VALU_DEP_4)
	v_add_co_ci_u32_e32 v26, vcc_lo, v21, v17, vcc_lo
	v_add_co_ci_u32_e32 v25, vcc_lo, 0, v25, vcc_lo
	s_delay_alu instid0(VALU_DEP_1) | instskip(NEXT) | instid1(VALU_DEP_1)
	v_add_nc_u64_e32 v[16:17], v[26:27], v[24:25]
	v_mul_u64_e32 v[20:21], s[26:27], v[16:17]
	s_delay_alu instid0(VALU_DEP_1) | instskip(NEXT) | instid1(VALU_DEP_2)
	v_sub_nc_u32_e32 v3, v22, v21
	v_sub_co_u32 v13, vcc_lo, v18, v20
	s_delay_alu instid0(VALU_DEP_1) | instskip(NEXT) | instid1(VALU_DEP_3)
	v_sub_co_ci_u32_e64 v22, null, v22, v21, vcc_lo
	v_subrev_co_ci_u32_e64 v3, null, s27, v3, vcc_lo
	s_delay_alu instid0(VALU_DEP_3) | instskip(SKIP_1) | instid1(VALU_DEP_3)
	v_sub_co_u32 v15, s0, v13, s26
	v_add_nc_u64_e32 v[20:21], 1, v[16:17]
	v_subrev_co_ci_u32_e64 v3, null, 0, v3, s0
	s_delay_alu instid0(VALU_DEP_3) | instskip(SKIP_1) | instid1(VALU_DEP_3)
	v_cmp_le_u32_e32 vcc_lo, s26, v15
	v_cndmask_b32_e64 v15, 0, -1, vcc_lo
	v_cmp_le_u32_e32 vcc_lo, s27, v3
	v_cndmask_b32_e64 v18, 0, -1, vcc_lo
	;; [unrolled: 2-line block ×4, first 2 shown]
	v_cmp_eq_u32_e32 vcc_lo, s27, v3
	v_cndmask_b32_e32 v3, v18, v15, vcc_lo
	v_cmp_eq_u32_e32 vcc_lo, s27, v22
	v_add_nc_u64_e32 v[18:19], 2, v[16:17]
	v_cndmask_b32_e32 v13, v23, v13, vcc_lo
	s_delay_alu instid0(VALU_DEP_4) | instskip(NEXT) | instid1(VALU_DEP_3)
	v_cmp_ne_u32_e32 vcc_lo, 0, v3
	v_cndmask_b32_e32 v3, v21, v19, vcc_lo
	s_delay_alu instid0(VALU_DEP_3) | instskip(SKIP_1) | instid1(VALU_DEP_1)
	v_cmp_ne_u32_e64 s0, 0, v13
	v_dual_cndmask_b32 v13, v20, v18, vcc_lo :: v_dual_bitop2_b32 v12, s2, v12 bitop3:0x14
	v_dual_cndmask_b32 v3, v17, v3, s0 :: v_dual_cndmask_b32 v15, v16, v13, s0
	s_delay_alu instid0(VALU_DEP_1) | instskip(NEXT) | instid1(VALU_DEP_2)
	v_dual_mov_b32 v13, v12 :: v_dual_bitop2_b32 v17, v3, v12 bitop3:0x14
	v_xor_b32_e32 v16, v15, v12
	s_delay_alu instid0(VALU_DEP_1)
	v_sub_nc_u64_e32 v[12:13], v[16:17], v[12:13]
.LBB8_13:                               ;   in Loop: Header=BB8_3 Depth=1
	s_and_not1_saveexec_b32 s0, s1
	s_cbranch_execz .LBB8_15
; %bb.14:                               ;   in Loop: Header=BB8_3 Depth=1
	v_cvt_f32_u32_e32 v3, s36
	s_sub_co_i32 s1, 0, s36
	s_delay_alu instid0(VALU_DEP_1) | instskip(SKIP_1) | instid1(TRANS32_DEP_1)
	v_rcp_iflag_f32_e32 v3, v3
	v_nop
	v_mul_f32_e32 v3, 0x4f7ffffe, v3
	s_delay_alu instid0(VALU_DEP_1) | instskip(NEXT) | instid1(VALU_DEP_1)
	v_cvt_u32_f32_e32 v3, v3
	v_mul_lo_u32 v12, s1, v3
	s_delay_alu instid0(VALU_DEP_1) | instskip(NEXT) | instid1(VALU_DEP_1)
	v_mul_hi_u32 v12, v3, v12
	v_add_nc_u32_e32 v3, v3, v12
	s_delay_alu instid0(VALU_DEP_1) | instskip(NEXT) | instid1(VALU_DEP_1)
	v_mul_hi_u32 v3, v10, v3
	v_mul_lo_u32 v12, v3, s36
	s_delay_alu instid0(VALU_DEP_1) | instskip(NEXT) | instid1(VALU_DEP_1)
	v_dual_add_nc_u32 v13, 1, v3 :: v_dual_sub_nc_u32 v12, v10, v12
	v_subrev_nc_u32_e32 v15, s36, v12
	v_cmp_le_u32_e32 vcc_lo, s36, v12
	s_delay_alu instid0(VALU_DEP_2) | instskip(NEXT) | instid1(VALU_DEP_1)
	v_dual_cndmask_b32 v12, v12, v15 :: v_dual_cndmask_b32 v3, v3, v13
	v_cmp_le_u32_e32 vcc_lo, s36, v12
	s_delay_alu instid0(VALU_DEP_2) | instskip(NEXT) | instid1(VALU_DEP_1)
	v_add_nc_u32_e32 v13, 1, v3
	v_dual_cndmask_b32 v12, v3, v13 :: v_dual_mov_b32 v13, v2
.LBB8_15:                               ;   in Loop: Header=BB8_3 Depth=1
	s_or_b32 exec_lo, exec_lo, s0
	s_delay_alu instid0(VALU_DEP_1) | instskip(SKIP_3) | instid1(VALU_DEP_3)
	v_mul_u64_e32 v[16:17], s[36:37], v[12:13]
	v_mul_u64_e32 v[18:19], s[34:35], v[10:11]
	;; [unrolled: 1-line block ×3, first 2 shown]
	s_and_not1_b32 vcc_lo, exec_lo, s19
	v_sub_nc_u64_e32 v[20:21], v[10:11], v[16:17]
	s_delay_alu instid0(VALU_DEP_3) | instskip(NEXT) | instid1(VALU_DEP_2)
	v_sub_nc_u64_e32 v[18:19], v[8:9], v[18:19]
	v_mul_u64_e32 v[10:11], s[38:39], v[20:21]
	s_delay_alu instid0(VALU_DEP_2) | instskip(SKIP_1) | instid1(VALU_DEP_1)
	v_mul_u64_e32 v[22:23], s[42:43], v[18:19]
	v_mad_nc_u64_u32 v[20:21], v16, s14, v[20:21]
	v_mad_u32 v3, v17, s14, v21
	s_delay_alu instid0(VALU_DEP_2) | instskip(NEXT) | instid1(VALU_DEP_2)
	v_mad_nc_u64_u32 v[18:19], v20, s34, v[18:19]
	v_mad_u32 v3, v16, s15, v3
	v_sub_nc_u64_e32 v[16:17], v[0:1], v[26:27]
	v_sub_nc_u64_e64 v[10:11], v[10:11], s[40:41]
	v_sub_nc_u64_e64 v[8:9], v[22:23], s[44:45]
	s_delay_alu instid0(VALU_DEP_4) | instskip(NEXT) | instid1(VALU_DEP_3)
	v_mad_u32 v3, v3, s34, v19
	v_mad_nc_u64_u32 v[24:25], v12, s46, v[10:11]
	s_delay_alu instid0(VALU_DEP_2) | instskip(SKIP_1) | instid1(VALU_DEP_3)
	v_mad_u32 v19, v20, s35, v3
	v_mul_u64_e32 v[20:21], s[10:11], v[16:17]
	v_mad_u32 v13, v13, s46, v25
	s_delay_alu instid0(VALU_DEP_3) | instskip(NEXT) | instid1(VALU_DEP_2)
	v_mul_u64_e32 v[18:19], s[30:31], v[18:19]
	v_mad_u32 v15, v12, s47, v13
	v_mad_nc_u64_u32 v[12:13], v24, s48, v[8:9]
	s_delay_alu instid0(VALU_DEP_1) | instskip(NEXT) | instid1(VALU_DEP_1)
	v_mad_u32 v13, v15, s48, v13
	v_mad_u32 v13, v24, s49, v13
	v_lshl_add_u64 v[6:7], v[18:19], 1, v[6:7]
	s_delay_alu instid0(VALU_DEP_1) | instskip(NEXT) | instid1(VALU_DEP_3)
	v_lshl_add_u64 v[6:7], v[16:17], 1, v[6:7]
	v_mul_u64_e32 v[22:23], s[50:51], v[12:13]
	v_sub_nc_u64_e64 v[12:13], v[20:21], s[12:13]
	s_delay_alu instid0(VALU_DEP_2) | instskip(NEXT) | instid1(VALU_DEP_1)
	v_lshl_add_u64 v[4:5], v[22:23], 1, v[4:5]
	v_lshl_add_u64 v[4:5], v[12:13], 1, v[4:5]
	s_cbranch_vccnz .LBB8_2
; %bb.16:                               ;   in Loop: Header=BB8_3 Depth=1
	s_mov_b32 s23, 0
	s_mov_b32 s28, 0
	s_branch .LBB8_18
.LBB8_17:                               ;   in Loop: Header=BB8_18 Depth=2
	s_add_co_i32 s28, s28, 1
	s_add_co_i32 s23, s23, s55
	s_cmp_eq_u32 s28, s7
	s_cbranch_scc1 .LBB8_2
.LBB8_18:                               ;   Parent Loop BB8_3 Depth=1
                                        ; =>  This Loop Header: Depth=2
                                        ;       Child Loop BB8_21 Depth 3
                                        ;         Child Loop BB8_24 Depth 4
	s_and_not1_b32 vcc_lo, exec_lo, s33
	s_cbranch_vccnz .LBB8_17
; %bb.19:                               ;   in Loop: Header=BB8_18 Depth=2
	s_mul_i32 s0, s28, s16
	s_mov_b32 s57, 0
	s_ashr_i32 s1, s0, 31
	s_mov_b32 s58, s23
	v_add_nc_u64_e32 v[16:17], s[0:1], v[10:11]
	s_delay_alu instid0(VALU_DEP_1)
	v_cmp_lt_i64_e64 s0, -1, v[16:17]
	v_cmp_gt_i64_e64 s1, s[46:47], v[16:17]
	s_branch .LBB8_21
.LBB8_20:                               ;   in Loop: Header=BB8_21 Depth=3
	s_add_co_i32 s57, s57, 1
	s_add_co_i32 s58, s58, s6
	s_cmp_eq_u32 s57, s8
	s_cbranch_scc1 .LBB8_17
.LBB8_21:                               ;   Parent Loop BB8_3 Depth=1
                                        ;     Parent Loop BB8_18 Depth=2
                                        ; =>    This Loop Header: Depth=3
                                        ;         Child Loop BB8_24 Depth 4
	s_and_not1_b32 vcc_lo, exec_lo, s54
	s_cbranch_vccnz .LBB8_20
; %bb.22:                               ;   in Loop: Header=BB8_21 Depth=3
	s_mul_i32 s2, s57, s17
	s_mov_b32 s26, 0
	s_ashr_i32 s3, s2, 31
	s_mov_b32 s60, s9
	v_add_nc_u64_e32 v[16:17], s[2:3], v[8:9]
	s_delay_alu instid0(VALU_DEP_1)
	v_cmp_lt_i64_e64 s2, -1, v[16:17]
	v_cmp_gt_i64_e32 vcc_lo, s[48:49], v[16:17]
	s_and_b32 s59, s0, s2
	s_branch .LBB8_24
.LBB8_23:                               ;   in Loop: Header=BB8_24 Depth=4
	s_wait_xcnt 0x0
	s_or_b32 exec_lo, exec_lo, s2
	s_wait_loadcnt 0x0
	global_store_b16 v[6:7], v3, off
	s_wait_xcnt 0x0
	v_add_nc_u64_e32 v[6:7], s[52:53], v[6:7]
	s_add_co_i32 s60, s60, -1
	s_add_co_i32 s26, s26, s18
	s_cmp_eq_u32 s60, 0
	s_cbranch_scc1 .LBB8_20
.LBB8_24:                               ;   Parent Loop BB8_3 Depth=1
                                        ;     Parent Loop BB8_18 Depth=2
                                        ;       Parent Loop BB8_21 Depth=3
                                        ; =>      This Inner Loop Header: Depth=4
	s_ashr_i32 s27, s26, 31
	v_mov_b32_e32 v3, 0
	v_add_nc_u64_e32 v[16:17], s[26:27], v[12:13]
	s_delay_alu instid0(VALU_DEP_1) | instskip(SKIP_2) | instid1(SALU_CYCLE_1)
	v_cmp_lt_i64_e64 s2, -1, v[16:17]
	v_cmp_gt_i64_e64 s3, s[50:51], v[16:17]
	s_and_b32 s2, s59, s2
	s_and_b32 s2, s1, s2
	s_delay_alu instid0(SALU_CYCLE_1) | instskip(NEXT) | instid1(SALU_CYCLE_1)
	s_and_b32 s2, s2, vcc_lo
	s_and_b32 s3, s2, s3
	s_delay_alu instid0(SALU_CYCLE_1)
	s_and_saveexec_b32 s2, s3
	s_cbranch_execz .LBB8_23
; %bb.25:                               ;   in Loop: Header=BB8_24 Depth=4
	s_add_co_i32 s62, s58, s26
	s_delay_alu instid0(SALU_CYCLE_1) | instskip(NEXT) | instid1(SALU_CYCLE_1)
	s_ashr_i32 s63, s62, 31
	v_lshl_add_u64 v[16:17], s[62:63], 1, v[4:5]
	global_load_u16 v3, v[16:17], off
	s_branch .LBB8_23
.LBB8_26:
	s_endpgm
	.section	.rodata,"a",@progbits
	.p2align	6, 0x0
	.amdhsa_kernel _ZN2at6native14vol2col_kernelIN3c104HalfEEEvlPKT_iiiiiiiiiiiiiiiiiiPS4_
		.amdhsa_group_segment_fixed_size 0
		.amdhsa_private_segment_fixed_size 0
		.amdhsa_kernarg_size 352
		.amdhsa_user_sgpr_count 2
		.amdhsa_user_sgpr_dispatch_ptr 0
		.amdhsa_user_sgpr_queue_ptr 0
		.amdhsa_user_sgpr_kernarg_segment_ptr 1
		.amdhsa_user_sgpr_dispatch_id 0
		.amdhsa_user_sgpr_kernarg_preload_length 0
		.amdhsa_user_sgpr_kernarg_preload_offset 0
		.amdhsa_user_sgpr_private_segment_size 0
		.amdhsa_wavefront_size32 1
		.amdhsa_uses_dynamic_stack 0
		.amdhsa_enable_private_segment 0
		.amdhsa_system_sgpr_workgroup_id_x 1
		.amdhsa_system_sgpr_workgroup_id_y 0
		.amdhsa_system_sgpr_workgroup_id_z 0
		.amdhsa_system_sgpr_workgroup_info 0
		.amdhsa_system_vgpr_workitem_id 0
		.amdhsa_next_free_vgpr 28
		.amdhsa_next_free_sgpr 66
		.amdhsa_named_barrier_count 0
		.amdhsa_reserve_vcc 1
		.amdhsa_float_round_mode_32 0
		.amdhsa_float_round_mode_16_64 0
		.amdhsa_float_denorm_mode_32 3
		.amdhsa_float_denorm_mode_16_64 3
		.amdhsa_fp16_overflow 0
		.amdhsa_memory_ordered 1
		.amdhsa_forward_progress 1
		.amdhsa_inst_pref_size 25
		.amdhsa_round_robin_scheduling 0
		.amdhsa_exception_fp_ieee_invalid_op 0
		.amdhsa_exception_fp_denorm_src 0
		.amdhsa_exception_fp_ieee_div_zero 0
		.amdhsa_exception_fp_ieee_overflow 0
		.amdhsa_exception_fp_ieee_underflow 0
		.amdhsa_exception_fp_ieee_inexact 0
		.amdhsa_exception_int_div_zero 0
	.end_amdhsa_kernel
	.section	.text._ZN2at6native14vol2col_kernelIN3c104HalfEEEvlPKT_iiiiiiiiiiiiiiiiiiPS4_,"axG",@progbits,_ZN2at6native14vol2col_kernelIN3c104HalfEEEvlPKT_iiiiiiiiiiiiiiiiiiPS4_,comdat
.Lfunc_end8:
	.size	_ZN2at6native14vol2col_kernelIN3c104HalfEEEvlPKT_iiiiiiiiiiiiiiiiiiPS4_, .Lfunc_end8-_ZN2at6native14vol2col_kernelIN3c104HalfEEEvlPKT_iiiiiiiiiiiiiiiiiiPS4_
                                        ; -- End function
	.set _ZN2at6native14vol2col_kernelIN3c104HalfEEEvlPKT_iiiiiiiiiiiiiiiiiiPS4_.num_vgpr, 28
	.set _ZN2at6native14vol2col_kernelIN3c104HalfEEEvlPKT_iiiiiiiiiiiiiiiiiiPS4_.num_agpr, 0
	.set _ZN2at6native14vol2col_kernelIN3c104HalfEEEvlPKT_iiiiiiiiiiiiiiiiiiPS4_.numbered_sgpr, 66
	.set _ZN2at6native14vol2col_kernelIN3c104HalfEEEvlPKT_iiiiiiiiiiiiiiiiiiPS4_.num_named_barrier, 0
	.set _ZN2at6native14vol2col_kernelIN3c104HalfEEEvlPKT_iiiiiiiiiiiiiiiiiiPS4_.private_seg_size, 0
	.set _ZN2at6native14vol2col_kernelIN3c104HalfEEEvlPKT_iiiiiiiiiiiiiiiiiiPS4_.uses_vcc, 1
	.set _ZN2at6native14vol2col_kernelIN3c104HalfEEEvlPKT_iiiiiiiiiiiiiiiiiiPS4_.uses_flat_scratch, 0
	.set _ZN2at6native14vol2col_kernelIN3c104HalfEEEvlPKT_iiiiiiiiiiiiiiiiiiPS4_.has_dyn_sized_stack, 0
	.set _ZN2at6native14vol2col_kernelIN3c104HalfEEEvlPKT_iiiiiiiiiiiiiiiiiiPS4_.has_recursion, 0
	.set _ZN2at6native14vol2col_kernelIN3c104HalfEEEvlPKT_iiiiiiiiiiiiiiiiiiPS4_.has_indirect_call, 0
	.section	.AMDGPU.csdata,"",@progbits
; Kernel info:
; codeLenInByte = 3132
; TotalNumSgprs: 68
; NumVgprs: 28
; ScratchSize: 0
; MemoryBound: 0
; FloatMode: 240
; IeeeMode: 1
; LDSByteSize: 0 bytes/workgroup (compile time only)
; SGPRBlocks: 0
; VGPRBlocks: 1
; NumSGPRsForWavesPerEU: 68
; NumVGPRsForWavesPerEU: 28
; NamedBarCnt: 0
; Occupancy: 16
; WaveLimiterHint : 0
; COMPUTE_PGM_RSRC2:SCRATCH_EN: 0
; COMPUTE_PGM_RSRC2:USER_SGPR: 2
; COMPUTE_PGM_RSRC2:TRAP_HANDLER: 0
; COMPUTE_PGM_RSRC2:TGID_X_EN: 1
; COMPUTE_PGM_RSRC2:TGID_Y_EN: 0
; COMPUTE_PGM_RSRC2:TGID_Z_EN: 0
; COMPUTE_PGM_RSRC2:TIDIG_COMP_CNT: 0
	.section	.text._ZN2at6native13im2col_kernelIN3c104HalfEEEvlPKT_llllllllllllPS4_,"axG",@progbits,_ZN2at6native13im2col_kernelIN3c104HalfEEEvlPKT_llllllllllllPS4_,comdat
	.protected	_ZN2at6native13im2col_kernelIN3c104HalfEEEvlPKT_llllllllllllPS4_ ; -- Begin function _ZN2at6native13im2col_kernelIN3c104HalfEEEvlPKT_llllllllllllPS4_
	.globl	_ZN2at6native13im2col_kernelIN3c104HalfEEEvlPKT_llllllllllllPS4_
	.p2align	8
	.type	_ZN2at6native13im2col_kernelIN3c104HalfEEEvlPKT_llllllllllllPS4_,@function
_ZN2at6native13im2col_kernelIN3c104HalfEEEvlPKT_llllllllllllPS4_: ; @_ZN2at6native13im2col_kernelIN3c104HalfEEEvlPKT_llllllllllllPS4_
; %bb.0:
	s_load_b32 s2, s[0:1], 0x84
	s_bfe_u32 s4, ttmp6, 0x4000c
	v_mov_b32_e32 v2, 0
	s_add_co_i32 s21, s4, 1
	s_load_b512 s[4:19], s[0:1], 0x0
	s_and_b32 s3, ttmp6, 15
	s_mul_i32 s21, ttmp9, s21
	s_getreg_b32 s20, hwreg(HW_REG_IB_STS2, 6, 4)
	v_mov_b32_e32 v1, v2
	s_add_co_i32 s3, s3, s21
	s_wait_kmcnt 0x0
	s_and_b32 s2, s2, 0xffff
	s_cmp_eq_u32 s20, 0
	s_mov_b32 s20, exec_lo
	s_cselect_b32 s3, ttmp9, s3
	s_delay_alu instid0(SALU_CYCLE_1) | instskip(SKIP_1) | instid1(VALU_DEP_1)
	v_mad_nc_u64_u32 v[0:1], s2, s3, v[0:1]
	s_mov_b32 s3, 0
	v_cmpx_gt_i64_e64 s[4:5], v[0:1]
	s_cbranch_execz .LBB9_19
; %bb.1:
	s_load_b256 s[20:27], s[0:1], 0x60
	s_wait_kmcnt 0x0
	s_add_nc_u64 s[26:27], s[0:1], 0x78
	v_cmp_gt_i64_e64 s33, s[12:13], 0
	s_load_b32 s28, s[26:27], 0x0
	s_load_b256 s[36:43], s[0:1], 0x40
	v_cmp_gt_i64_e64 s58, s[14:15], 0
	s_mov_b32 s29, s3
	s_lshl_b64 s[30:31], s[10:11], 1
	s_mov_b64 s[48:49], 0xffffffff
	s_mov_b32 s59, 0
	v_cvt_f32_u32_e32 v3, s22
	s_wait_xcnt 0x0
	s_mul_u64 s[0:1], s[14:15], s[20:21]
	s_wait_kmcnt 0x0
	s_mul_i32 s28, s28, s2
	s_mul_u64 s[26:27], s[0:1], s[12:13]
	s_lshl_b64 s[0:1], s[18:19], 1
	v_rcp_iflag_f32_e32 v3, v3
	s_sub_nc_u64 s[0:1], 0, s[0:1]
	s_lshl_b64 s[34:35], s[38:39], 1
	s_add_nc_u64 s[6:7], s[6:7], s[0:1]
	s_mul_u64 s[0:1], s[40:41], s[10:11]
	s_lshl_b64 s[46:47], s[42:43], 1
	s_lshl_b64 s[44:45], s[0:1], 1
	v_nop
	v_mul_f32_e32 v3, 0x4f7ffffe, v3
	s_mul_u64 s[0:1], s[22:23], s[20:21]
	s_ashr_i32 s52, s23, 31
	s_lshl_b64 s[50:51], s[0:1], 1
	s_delay_alu instid0(VALU_DEP_1)
	v_cvt_u32_f32_e32 v16, v3
	s_branch .LBB9_3
.LBB9_2:                                ;   in Loop: Header=BB9_3 Depth=1
	v_add_nc_u64_e32 v[0:1], s[28:29], v[0:1]
	s_delay_alu instid0(VALU_DEP_1) | instskip(SKIP_1) | instid1(SALU_CYCLE_1)
	v_cmp_le_i64_e32 vcc_lo, s[4:5], v[0:1]
	s_or_b32 s59, vcc_lo, s59
	s_and_not1_b32 exec_lo, exec_lo, s59
	s_cbranch_execz .LBB9_19
.LBB9_3:                                ; =>This Loop Header: Depth=1
                                        ;     Child Loop BB9_14 Depth 2
                                        ;       Child Loop BB9_17 Depth 3
	v_or_b32_e32 v3, s23, v1
                                        ; implicit-def: $vgpr4_vgpr5
	s_mov_b32 s0, exec_lo
	s_delay_alu instid0(VALU_DEP_1)
	v_cmpx_ne_u64_e32 0, v[2:3]
	s_xor_b32 s1, exec_lo, s0
	s_cbranch_execz .LBB9_5
; %bb.4:                                ;   in Loop: Header=BB9_3 Depth=1
	s_mov_b32 s53, s52
	v_dual_mov_b32 v9, v2 :: v_dual_ashrrev_i32 v4, 31, v1
	s_add_nc_u64 s[54:55], s[22:23], s[52:53]
	s_delay_alu instid0(SALU_CYCLE_1) | instskip(NEXT) | instid1(VALU_DEP_1)
	s_xor_b64 s[54:55], s[54:55], s[52:53]
	v_mov_b32_e32 v5, v4
	s_cvt_f32_u32 s0, s54
	s_cvt_f32_u32 s2, s55
	s_sub_nc_u64 s[60:61], 0, s[54:55]
	s_delay_alu instid0(VALU_DEP_1) | instskip(NEXT) | instid1(SALU_CYCLE_1)
	v_add_nc_u64_e32 v[6:7], v[0:1], v[4:5]
	s_fmamk_f32 s0, s2, 0x4f800000, s0
	v_mov_b32_e32 v13, v2
	s_delay_alu instid0(SALU_CYCLE_2) | instskip(NEXT) | instid1(VALU_DEP_2)
	v_s_rcp_f32 s0, s0
	v_xor_b32_e32 v8, v6, v4
	s_delay_alu instid0(VALU_DEP_3) | instskip(SKIP_1) | instid1(TRANS32_DEP_1)
	v_dual_mov_b32 v19, v2 :: v_dual_bitop2_b32 v12, v7, v4 bitop3:0x14
	v_xor_b32_e32 v4, s52, v4
	s_mul_f32 s0, s0, 0x5f7ffffc
	s_delay_alu instid0(SALU_CYCLE_3) | instskip(NEXT) | instid1(SALU_CYCLE_3)
	s_mul_f32 s2, s0, 0x2f800000
	s_trunc_f32 s2, s2
	s_delay_alu instid0(SALU_CYCLE_3) | instskip(SKIP_1) | instid1(SALU_CYCLE_2)
	s_fmamk_f32 s0, s2, 0xcf800000, s0
	s_cvt_u32_f32 s57, s2
	s_cvt_u32_f32 s56, s0
	s_delay_alu instid0(SALU_CYCLE_3) | instskip(NEXT) | instid1(SALU_CYCLE_1)
	s_mul_u64 s[62:63], s[60:61], s[56:57]
	s_mul_hi_u32 s65, s56, s63
	s_mul_i32 s64, s56, s63
	s_mul_hi_u32 s2, s56, s62
	s_mul_i32 s53, s57, s62
	s_add_nc_u64 s[64:65], s[2:3], s[64:65]
	s_mul_hi_u32 s0, s57, s62
	s_mul_hi_u32 s66, s57, s63
	s_add_co_u32 s2, s64, s53
	s_add_co_ci_u32 s2, s65, s0
	s_mul_i32 s62, s57, s63
	s_add_co_ci_u32 s63, s66, 0
	s_delay_alu instid0(SALU_CYCLE_1) | instskip(NEXT) | instid1(SALU_CYCLE_1)
	s_add_nc_u64 s[62:63], s[2:3], s[62:63]
	s_add_co_u32 s56, s56, s62
	s_cselect_b32 s0, -1, 0
	s_delay_alu instid0(SALU_CYCLE_1) | instskip(SKIP_1) | instid1(SALU_CYCLE_1)
	s_cmp_lg_u32 s0, 0
	s_add_co_ci_u32 s57, s57, s63
	s_mul_u64 s[60:61], s[60:61], s[56:57]
	s_delay_alu instid0(SALU_CYCLE_1)
	s_mul_hi_u32 s63, s56, s61
	s_mul_i32 s62, s56, s61
	s_mul_hi_u32 s2, s56, s60
	s_mul_i32 s53, s57, s60
	s_add_nc_u64 s[62:63], s[2:3], s[62:63]
	s_mul_hi_u32 s0, s57, s60
	s_mul_hi_u32 s64, s57, s61
	s_add_co_u32 s2, s62, s53
	s_add_co_ci_u32 s2, s63, s0
	s_mul_i32 s60, s57, s61
	s_add_co_ci_u32 s61, s64, 0
	s_delay_alu instid0(SALU_CYCLE_1) | instskip(NEXT) | instid1(SALU_CYCLE_1)
	s_add_nc_u64 s[60:61], s[2:3], s[60:61]
	s_add_co_u32 s0, s56, s60
	s_cselect_b32 s2, -1, 0
	v_mul_hi_u32 v18, v8, s0
	s_cmp_lg_u32 s2, 0
	s_add_co_ci_u32 s2, s57, s61
	s_and_b64 s[56:57], s[0:1], s[48:49]
	v_mul_u64_e32 v[10:11], s[2:3], v[8:9]
	v_mul_u64_e32 v[6:7], s[56:57], v[12:13]
	;; [unrolled: 1-line block ×3, first 2 shown]
	s_delay_alu instid0(VALU_DEP_3) | instskip(NEXT) | instid1(VALU_DEP_1)
	v_add_nc_u64_e32 v[10:11], v[18:19], v[10:11]
	v_add_co_u32 v3, vcc_lo, v10, v6
	s_delay_alu instid0(VALU_DEP_2) | instskip(NEXT) | instid1(VALU_DEP_4)
	v_add_co_ci_u32_e32 v18, vcc_lo, v11, v7, vcc_lo
	v_add_co_ci_u32_e32 v15, vcc_lo, 0, v15, vcc_lo
	s_delay_alu instid0(VALU_DEP_1) | instskip(NEXT) | instid1(VALU_DEP_1)
	v_add_nc_u64_e32 v[6:7], v[18:19], v[14:15]
	v_mul_u64_e32 v[10:11], s[54:55], v[6:7]
	s_delay_alu instid0(VALU_DEP_1) | instskip(NEXT) | instid1(VALU_DEP_2)
	v_sub_nc_u32_e32 v3, v12, v11
	v_sub_co_u32 v5, vcc_lo, v8, v10
	s_delay_alu instid0(VALU_DEP_1) | instskip(NEXT) | instid1(VALU_DEP_3)
	v_sub_co_ci_u32_e64 v12, null, v12, v11, vcc_lo
	v_subrev_co_ci_u32_e64 v3, null, s55, v3, vcc_lo
	s_delay_alu instid0(VALU_DEP_3) | instskip(SKIP_1) | instid1(VALU_DEP_3)
	v_sub_co_u32 v8, s0, v5, s54
	v_add_nc_u64_e32 v[10:11], 1, v[6:7]
	v_subrev_co_ci_u32_e64 v3, null, 0, v3, s0
	s_delay_alu instid0(VALU_DEP_3) | instskip(SKIP_1) | instid1(VALU_DEP_3)
	v_cmp_le_u32_e32 vcc_lo, s54, v8
	v_cndmask_b32_e64 v8, 0, -1, vcc_lo
	v_cmp_le_u32_e32 vcc_lo, s55, v3
	v_cndmask_b32_e64 v9, 0, -1, vcc_lo
	;; [unrolled: 2-line block ×4, first 2 shown]
	v_cmp_eq_u32_e32 vcc_lo, s55, v3
	v_cndmask_b32_e32 v3, v9, v8, vcc_lo
	v_cmp_eq_u32_e32 vcc_lo, s55, v12
	v_add_nc_u64_e32 v[8:9], 2, v[6:7]
	v_cndmask_b32_e32 v5, v13, v5, vcc_lo
	s_delay_alu instid0(VALU_DEP_4) | instskip(NEXT) | instid1(VALU_DEP_2)
	v_cmp_ne_u32_e32 vcc_lo, 0, v3
	v_cmp_ne_u32_e64 s0, 0, v5
	s_delay_alu instid0(VALU_DEP_4) | instskip(NEXT) | instid1(VALU_DEP_1)
	v_dual_cndmask_b32 v3, v11, v9, vcc_lo :: v_dual_cndmask_b32 v5, v10, v8, vcc_lo
	v_dual_cndmask_b32 v6, v6, v5, s0 :: v_dual_mov_b32 v5, v4
	s_delay_alu instid0(VALU_DEP_1) | instskip(NEXT) | instid1(VALU_DEP_1)
	v_dual_cndmask_b32 v3, v7, v3, s0 :: v_dual_bitop2_b32 v6, v6, v4 bitop3:0x14
	v_xor_b32_e32 v7, v3, v4
	s_delay_alu instid0(VALU_DEP_1)
	v_sub_nc_u64_e32 v[4:5], v[6:7], v[4:5]
.LBB9_5:                                ;   in Loop: Header=BB9_3 Depth=1
	s_and_not1_saveexec_b32 s0, s1
	s_cbranch_execz .LBB9_7
; %bb.6:                                ;   in Loop: Header=BB9_3 Depth=1
	s_sub_co_i32 s1, 0, s22
	s_delay_alu instid0(SALU_CYCLE_1) | instskip(NEXT) | instid1(VALU_DEP_1)
	v_mul_lo_u32 v3, s1, v16
	v_mul_hi_u32 v3, v16, v3
	s_delay_alu instid0(VALU_DEP_1) | instskip(NEXT) | instid1(VALU_DEP_1)
	v_add_nc_u32_e32 v3, v16, v3
	v_mul_hi_u32 v3, v0, v3
	s_delay_alu instid0(VALU_DEP_1) | instskip(NEXT) | instid1(VALU_DEP_1)
	v_mul_lo_u32 v4, v3, s22
	v_dual_add_nc_u32 v5, 1, v3 :: v_dual_sub_nc_u32 v4, v0, v4
	s_delay_alu instid0(VALU_DEP_1) | instskip(SKIP_1) | instid1(VALU_DEP_2)
	v_subrev_nc_u32_e32 v6, s22, v4
	v_cmp_le_u32_e32 vcc_lo, s22, v4
	v_dual_cndmask_b32 v4, v4, v6 :: v_dual_cndmask_b32 v3, v3, v5
	s_delay_alu instid0(VALU_DEP_1) | instskip(NEXT) | instid1(VALU_DEP_2)
	v_cmp_le_u32_e32 vcc_lo, s22, v4
	v_add_nc_u32_e32 v5, 1, v3
	s_delay_alu instid0(VALU_DEP_1)
	v_dual_cndmask_b32 v4, v3, v5 :: v_dual_mov_b32 v5, v2
.LBB9_7:                                ;   in Loop: Header=BB9_3 Depth=1
	s_or_b32 exec_lo, exec_lo, s0
	s_delay_alu instid0(VALU_DEP_1) | instskip(SKIP_1) | instid1(VALU_DEP_1)
	v_or_b32_e32 v3, s21, v5
                                        ; implicit-def: $vgpr6_vgpr7
	s_mov_b32 s0, exec_lo
	v_cmpx_ne_u64_e32 0, v[2:3]
	s_xor_b32 s1, exec_lo, s0
	s_cbranch_execnz .LBB9_10
; %bb.8:                                ;   in Loop: Header=BB9_3 Depth=1
	s_and_not1_saveexec_b32 s0, s1
	s_cbranch_execnz .LBB9_11
.LBB9_9:                                ;   in Loop: Header=BB9_3 Depth=1
	s_or_b32 exec_lo, exec_lo, s0
	s_delay_alu instid0(SALU_CYCLE_1)
	s_and_not1_b32 vcc_lo, exec_lo, s33
	s_cbranch_vccz .LBB9_12
	s_branch .LBB9_2
.LBB9_10:                               ;   in Loop: Header=BB9_3 Depth=1
	s_ashr_i32 s54, s21, 31
	v_dual_mov_b32 v11, v2 :: v_dual_ashrrev_i32 v6, 31, v5
	s_mov_b32 s55, s54
	v_mov_b32_e32 v21, v2
	s_add_nc_u64 s[56:57], s[20:21], s[54:55]
	s_delay_alu instid0(VALU_DEP_2) | instskip(SKIP_1) | instid1(SALU_CYCLE_1)
	v_mov_b32_e32 v7, v6
	s_xor_b64 s[56:57], s[56:57], s[54:55]
	s_cvt_f32_u32 s0, s56
	s_cvt_f32_u32 s2, s57
	s_sub_nc_u64 s[62:63], 0, s[56:57]
	v_add_nc_u64_e32 v[8:9], v[4:5], v[6:7]
	v_mov_b32_e32 v15, v2
	s_fmamk_f32 s0, s2, 0x4f800000, s0
	s_delay_alu instid0(SALU_CYCLE_3) | instskip(NEXT) | instid1(VALU_DEP_2)
	v_s_rcp_f32 s0, s0
	v_xor_b32_e32 v10, v8, v6
	s_delay_alu instid0(VALU_DEP_3) | instskip(NEXT) | instid1(TRANS32_DEP_1)
	v_xor_b32_e32 v14, v9, v6
	s_mul_f32 s0, s0, 0x5f7ffffc
	s_delay_alu instid0(SALU_CYCLE_3) | instskip(NEXT) | instid1(SALU_CYCLE_3)
	s_mul_f32 s2, s0, 0x2f800000
	s_trunc_f32 s2, s2
	s_delay_alu instid0(SALU_CYCLE_3) | instskip(SKIP_1) | instid1(SALU_CYCLE_2)
	s_fmamk_f32 s0, s2, 0xcf800000, s0
	s_cvt_u32_f32 s61, s2
	s_cvt_u32_f32 s60, s0
	s_delay_alu instid0(SALU_CYCLE_3) | instskip(NEXT) | instid1(SALU_CYCLE_1)
	s_mul_u64 s[64:65], s[62:63], s[60:61]
	s_mul_hi_u32 s67, s60, s65
	s_mul_i32 s66, s60, s65
	s_mul_hi_u32 s2, s60, s64
	s_mul_i32 s53, s61, s64
	s_add_nc_u64 s[66:67], s[2:3], s[66:67]
	s_mul_hi_u32 s0, s61, s64
	s_mul_hi_u32 s55, s61, s65
	s_add_co_u32 s2, s66, s53
	s_add_co_ci_u32 s2, s67, s0
	s_mul_i32 s64, s61, s65
	s_add_co_ci_u32 s65, s55, 0
	s_delay_alu instid0(SALU_CYCLE_1) | instskip(NEXT) | instid1(SALU_CYCLE_1)
	s_add_nc_u64 s[64:65], s[2:3], s[64:65]
	s_add_co_u32 s60, s60, s64
	s_cselect_b32 s0, -1, 0
	s_delay_alu instid0(SALU_CYCLE_1) | instskip(SKIP_1) | instid1(SALU_CYCLE_1)
	s_cmp_lg_u32 s0, 0
	s_add_co_ci_u32 s61, s61, s65
	s_mul_u64 s[62:63], s[62:63], s[60:61]
	s_delay_alu instid0(SALU_CYCLE_1)
	s_mul_hi_u32 s65, s60, s63
	s_mul_i32 s64, s60, s63
	s_mul_hi_u32 s2, s60, s62
	s_mul_i32 s53, s61, s62
	s_add_nc_u64 s[64:65], s[2:3], s[64:65]
	s_mul_hi_u32 s0, s61, s62
	s_mul_hi_u32 s55, s61, s63
	s_add_co_u32 s2, s64, s53
	s_add_co_ci_u32 s2, s65, s0
	s_mul_i32 s62, s61, s63
	s_add_co_ci_u32 s63, s55, 0
	s_delay_alu instid0(SALU_CYCLE_1) | instskip(NEXT) | instid1(SALU_CYCLE_1)
	s_add_nc_u64 s[62:63], s[2:3], s[62:63]
	s_add_co_u32 s0, s60, s62
	s_cselect_b32 s2, -1, 0
	v_mul_hi_u32 v20, v10, s0
	s_cmp_lg_u32 s2, 0
	s_add_co_ci_u32 s2, s61, s63
	s_and_b64 s[60:61], s[0:1], s[48:49]
	v_mul_u64_e32 v[12:13], s[2:3], v[10:11]
	v_mul_u64_e32 v[8:9], s[60:61], v[14:15]
	;; [unrolled: 1-line block ×3, first 2 shown]
	s_delay_alu instid0(VALU_DEP_3) | instskip(NEXT) | instid1(VALU_DEP_1)
	v_add_nc_u64_e32 v[12:13], v[20:21], v[12:13]
	v_add_co_u32 v3, vcc_lo, v12, v8
	s_delay_alu instid0(VALU_DEP_2) | instskip(NEXT) | instid1(VALU_DEP_4)
	v_add_co_ci_u32_e32 v20, vcc_lo, v13, v9, vcc_lo
	v_add_co_ci_u32_e32 v19, vcc_lo, 0, v19, vcc_lo
	s_delay_alu instid0(VALU_DEP_1) | instskip(NEXT) | instid1(VALU_DEP_1)
	v_add_nc_u64_e32 v[8:9], v[20:21], v[18:19]
	v_mul_u64_e32 v[12:13], s[56:57], v[8:9]
	s_delay_alu instid0(VALU_DEP_1) | instskip(NEXT) | instid1(VALU_DEP_2)
	v_sub_nc_u32_e32 v3, v14, v13
	v_sub_co_u32 v7, vcc_lo, v10, v12
	s_delay_alu instid0(VALU_DEP_1) | instskip(NEXT) | instid1(VALU_DEP_3)
	v_sub_co_ci_u32_e64 v14, null, v14, v13, vcc_lo
	v_subrev_co_ci_u32_e64 v3, null, s57, v3, vcc_lo
	s_delay_alu instid0(VALU_DEP_3) | instskip(SKIP_1) | instid1(VALU_DEP_3)
	v_sub_co_u32 v10, s0, v7, s56
	v_add_nc_u64_e32 v[12:13], 1, v[8:9]
	v_subrev_co_ci_u32_e64 v3, null, 0, v3, s0
	s_delay_alu instid0(VALU_DEP_3) | instskip(SKIP_1) | instid1(VALU_DEP_3)
	v_cmp_le_u32_e32 vcc_lo, s56, v10
	v_cndmask_b32_e64 v10, 0, -1, vcc_lo
	v_cmp_le_u32_e32 vcc_lo, s57, v3
	v_cndmask_b32_e64 v11, 0, -1, vcc_lo
	;; [unrolled: 2-line block ×4, first 2 shown]
	v_cmp_eq_u32_e32 vcc_lo, s57, v3
	v_cndmask_b32_e32 v3, v11, v10, vcc_lo
	v_cmp_eq_u32_e32 vcc_lo, s57, v14
	v_add_nc_u64_e32 v[10:11], 2, v[8:9]
	v_cndmask_b32_e32 v7, v15, v7, vcc_lo
	s_delay_alu instid0(VALU_DEP_4) | instskip(NEXT) | instid1(VALU_DEP_2)
	v_cmp_ne_u32_e32 vcc_lo, 0, v3
	v_cmp_ne_u32_e64 s0, 0, v7
	s_delay_alu instid0(VALU_DEP_4) | instskip(NEXT) | instid1(VALU_DEP_1)
	v_dual_cndmask_b32 v3, v13, v11, vcc_lo :: v_dual_cndmask_b32 v7, v12, v10, vcc_lo
	v_dual_cndmask_b32 v3, v9, v3, s0 :: v_dual_bitop2_b32 v6, s54, v6 bitop3:0x14
	s_delay_alu instid0(VALU_DEP_1) | instskip(NEXT) | instid1(VALU_DEP_2)
	v_dual_cndmask_b32 v8, v8, v7, s0 :: v_dual_mov_b32 v7, v6
	v_xor_b32_e32 v9, v3, v6
	s_delay_alu instid0(VALU_DEP_2) | instskip(NEXT) | instid1(VALU_DEP_1)
	v_xor_b32_e32 v8, v8, v6
	v_sub_nc_u64_e32 v[6:7], v[8:9], v[6:7]
	s_and_not1_saveexec_b32 s0, s1
	s_cbranch_execz .LBB9_9
.LBB9_11:                               ;   in Loop: Header=BB9_3 Depth=1
	v_cvt_f32_u32_e32 v3, s20
	s_sub_co_i32 s1, 0, s20
	s_delay_alu instid0(VALU_DEP_1) | instskip(SKIP_1) | instid1(TRANS32_DEP_1)
	v_rcp_iflag_f32_e32 v3, v3
	v_nop
	v_mul_f32_e32 v3, 0x4f7ffffe, v3
	s_delay_alu instid0(VALU_DEP_1) | instskip(NEXT) | instid1(VALU_DEP_1)
	v_cvt_u32_f32_e32 v3, v3
	v_mul_lo_u32 v6, s1, v3
	s_delay_alu instid0(VALU_DEP_1) | instskip(NEXT) | instid1(VALU_DEP_1)
	v_mul_hi_u32 v6, v3, v6
	v_add_nc_u32_e32 v3, v3, v6
	s_delay_alu instid0(VALU_DEP_1) | instskip(NEXT) | instid1(VALU_DEP_1)
	v_mul_hi_u32 v3, v4, v3
	v_mul_lo_u32 v6, v3, s20
	s_delay_alu instid0(VALU_DEP_1) | instskip(NEXT) | instid1(VALU_DEP_1)
	v_dual_add_nc_u32 v7, 1, v3 :: v_dual_sub_nc_u32 v6, v4, v6
	v_subrev_nc_u32_e32 v8, s20, v6
	v_cmp_le_u32_e32 vcc_lo, s20, v6
	s_delay_alu instid0(VALU_DEP_2) | instskip(NEXT) | instid1(VALU_DEP_1)
	v_dual_cndmask_b32 v6, v6, v8 :: v_dual_cndmask_b32 v3, v3, v7
	v_cmp_le_u32_e32 vcc_lo, s20, v6
	s_delay_alu instid0(VALU_DEP_2) | instskip(NEXT) | instid1(VALU_DEP_1)
	v_add_nc_u32_e32 v7, 1, v3
	v_dual_cndmask_b32 v6, v3, v7 :: v_dual_mov_b32 v7, v2
	s_or_b32 exec_lo, exec_lo, s0
	s_delay_alu instid0(SALU_CYCLE_1)
	s_and_not1_b32 vcc_lo, exec_lo, s33
	s_cbranch_vccnz .LBB9_2
.LBB9_12:                               ;   in Loop: Header=BB9_3 Depth=1
	s_delay_alu instid0(VALU_DEP_1) | instskip(SKIP_2) | instid1(VALU_DEP_2)
	v_mul_u64_e32 v[8:9], s[20:21], v[6:7]
	v_mul_u64_e32 v[10:11], s[22:23], v[4:5]
	s_mov_b64 s[54:55], 0
	v_sub_nc_u64_e32 v[4:5], v[4:5], v[8:9]
	s_delay_alu instid0(VALU_DEP_2) | instskip(NEXT) | instid1(VALU_DEP_2)
	v_sub_nc_u64_e32 v[10:11], v[0:1], v[10:11]
	v_mul_u64_e32 v[8:9], s[36:37], v[4:5]
	v_mad_nc_u64_u32 v[12:13], s26, v6, v[4:5]
	s_delay_alu instid0(VALU_DEP_3) | instskip(SKIP_1) | instid1(VALU_DEP_3)
	v_mul_u64_e32 v[14:15], s[34:35], v[10:11]
	v_mul_u64_e32 v[18:19], s[38:39], v[10:11]
	v_mad_u32 v3, s27, v6, v13
	s_delay_alu instid0(VALU_DEP_1) | instskip(SKIP_1) | instid1(VALU_DEP_2)
	v_mad_u32 v13, s26, v7, v3
	v_sub_nc_u64_e64 v[4:5], v[8:9], s[16:17]
	v_mul_u64_e32 v[12:13], s[22:23], v[12:13]
	s_delay_alu instid0(VALU_DEP_2) | instskip(NEXT) | instid1(VALU_DEP_1)
	v_mad_nc_u64_u32 v[8:9], v6, s8, v[4:5]
	v_mad_u32 v3, v7, s8, v9
	s_delay_alu instid0(VALU_DEP_2) | instskip(NEXT) | instid1(VALU_DEP_2)
	v_mad_nc_u64_u32 v[14:15], s30, v8, v[14:15]
	v_mad_u32 v3, v6, s9, v3
	s_delay_alu instid0(VALU_DEP_2) | instskip(SKIP_1) | instid1(VALU_DEP_1)
	v_mad_u32 v6, s31, v8, v15
	v_lshl_add_u64 v[12:13], v[12:13], 1, s[24:25]
	v_lshl_add_u64 v[10:11], v[10:11], 1, v[12:13]
	s_delay_alu instid0(VALU_DEP_3) | instskip(SKIP_1) | instid1(VALU_DEP_2)
	v_mad_u32 v15, s30, v3, v6
	v_sub_nc_u64_e64 v[6:7], v[18:19], s[18:19]
	v_add_nc_u64_e32 v[8:9], s[6:7], v[14:15]
	s_branch .LBB9_14
.LBB9_13:                               ;   in Loop: Header=BB9_14 Depth=2
	s_delay_alu instid0(VALU_DEP_1) | instskip(SKIP_1) | instid1(SALU_CYCLE_1)
	v_add_nc_u64_e32 v[8:9], s[44:45], v[8:9]
	s_add_nc_u64 s[54:55], s[54:55], 1
	s_cmp_eq_u64 s[54:55], s[12:13]
	s_cbranch_scc1 .LBB9_2
.LBB9_14:                               ;   Parent Loop BB9_3 Depth=1
                                        ; =>  This Loop Header: Depth=2
                                        ;       Child Loop BB9_17 Depth 3
	s_and_not1_b32 vcc_lo, exec_lo, s58
	s_cbranch_vccnz .LBB9_13
; %bb.15:                               ;   in Loop: Header=BB9_14 Depth=2
	v_mad_nc_u64_u32 v[12:13], s54, s40, v[4:5]
	s_mul_i32 s0, s55, s40
	s_mul_i32 s1, s54, s41
	v_mov_b64_e32 v[14:15], v[8:9]
	s_mov_b64 s[56:57], s[14:15]
	s_delay_alu instid0(VALU_DEP_2) | instskip(NEXT) | instid1(VALU_DEP_1)
	v_add3_u32 v13, s1, s0, v13
	v_cmp_lt_i64_e32 vcc_lo, -1, v[12:13]
	v_cmp_gt_i64_e64 s0, s[8:9], v[12:13]
	v_mov_b64_e32 v[12:13], v[6:7]
	s_branch .LBB9_17
.LBB9_16:                               ;   in Loop: Header=BB9_17 Depth=3
	s_wait_xcnt 0x0
	s_or_b32 exec_lo, exec_lo, s1
	s_wait_loadcnt 0x0
	global_store_b16 v[10:11], v3, off
	v_add_nc_u64_e32 v[14:15], s[46:47], v[14:15]
	v_add_nc_u64_e32 v[12:13], s[42:43], v[12:13]
	s_wait_xcnt 0x0
	v_add_nc_u64_e32 v[10:11], s[50:51], v[10:11]
	s_add_nc_u64 s[56:57], s[56:57], -1
	s_delay_alu instid0(SALU_CYCLE_1)
	s_cmp_eq_u64 s[56:57], 0
	s_cbranch_scc1 .LBB9_13
.LBB9_17:                               ;   Parent Loop BB9_3 Depth=1
                                        ;     Parent Loop BB9_14 Depth=2
                                        ; =>    This Inner Loop Header: Depth=3
	s_delay_alu instid0(VALU_DEP_1) | instskip(SKIP_3) | instid1(SALU_CYCLE_1)
	v_cmp_lt_i64_e64 s1, -1, v[12:13]
	v_cmp_gt_i64_e64 s2, s[10:11], v[12:13]
	v_mov_b32_e32 v3, 0
	s_and_b32 s1, vcc_lo, s1
	s_and_b32 s1, s0, s1
	s_delay_alu instid0(SALU_CYCLE_1) | instskip(NEXT) | instid1(SALU_CYCLE_1)
	s_and_b32 s2, s1, s2
	s_and_saveexec_b32 s1, s2
	s_cbranch_execz .LBB9_16
; %bb.18:                               ;   in Loop: Header=BB9_17 Depth=3
	global_load_u16 v3, v[14:15], off
	s_branch .LBB9_16
.LBB9_19:
	s_endpgm
	.section	.rodata,"a",@progbits
	.p2align	6, 0x0
	.amdhsa_kernel _ZN2at6native13im2col_kernelIN3c104HalfEEEvlPKT_llllllllllllPS4_
		.amdhsa_group_segment_fixed_size 0
		.amdhsa_private_segment_fixed_size 0
		.amdhsa_kernarg_size 376
		.amdhsa_user_sgpr_count 2
		.amdhsa_user_sgpr_dispatch_ptr 0
		.amdhsa_user_sgpr_queue_ptr 0
		.amdhsa_user_sgpr_kernarg_segment_ptr 1
		.amdhsa_user_sgpr_dispatch_id 0
		.amdhsa_user_sgpr_kernarg_preload_length 0
		.amdhsa_user_sgpr_kernarg_preload_offset 0
		.amdhsa_user_sgpr_private_segment_size 0
		.amdhsa_wavefront_size32 1
		.amdhsa_uses_dynamic_stack 0
		.amdhsa_enable_private_segment 0
		.amdhsa_system_sgpr_workgroup_id_x 1
		.amdhsa_system_sgpr_workgroup_id_y 0
		.amdhsa_system_sgpr_workgroup_id_z 0
		.amdhsa_system_sgpr_workgroup_info 0
		.amdhsa_system_vgpr_workitem_id 0
		.amdhsa_next_free_vgpr 22
		.amdhsa_next_free_sgpr 68
		.amdhsa_named_barrier_count 0
		.amdhsa_reserve_vcc 1
		.amdhsa_float_round_mode_32 0
		.amdhsa_float_round_mode_16_64 0
		.amdhsa_float_denorm_mode_32 3
		.amdhsa_float_denorm_mode_16_64 3
		.amdhsa_fp16_overflow 0
		.amdhsa_memory_ordered 1
		.amdhsa_forward_progress 1
		.amdhsa_inst_pref_size 17
		.amdhsa_round_robin_scheduling 0
		.amdhsa_exception_fp_ieee_invalid_op 0
		.amdhsa_exception_fp_denorm_src 0
		.amdhsa_exception_fp_ieee_div_zero 0
		.amdhsa_exception_fp_ieee_overflow 0
		.amdhsa_exception_fp_ieee_underflow 0
		.amdhsa_exception_fp_ieee_inexact 0
		.amdhsa_exception_int_div_zero 0
	.end_amdhsa_kernel
	.section	.text._ZN2at6native13im2col_kernelIN3c104HalfEEEvlPKT_llllllllllllPS4_,"axG",@progbits,_ZN2at6native13im2col_kernelIN3c104HalfEEEvlPKT_llllllllllllPS4_,comdat
.Lfunc_end9:
	.size	_ZN2at6native13im2col_kernelIN3c104HalfEEEvlPKT_llllllllllllPS4_, .Lfunc_end9-_ZN2at6native13im2col_kernelIN3c104HalfEEEvlPKT_llllllllllllPS4_
                                        ; -- End function
	.set _ZN2at6native13im2col_kernelIN3c104HalfEEEvlPKT_llllllllllllPS4_.num_vgpr, 22
	.set _ZN2at6native13im2col_kernelIN3c104HalfEEEvlPKT_llllllllllllPS4_.num_agpr, 0
	.set _ZN2at6native13im2col_kernelIN3c104HalfEEEvlPKT_llllllllllllPS4_.numbered_sgpr, 68
	.set _ZN2at6native13im2col_kernelIN3c104HalfEEEvlPKT_llllllllllllPS4_.num_named_barrier, 0
	.set _ZN2at6native13im2col_kernelIN3c104HalfEEEvlPKT_llllllllllllPS4_.private_seg_size, 0
	.set _ZN2at6native13im2col_kernelIN3c104HalfEEEvlPKT_llllllllllllPS4_.uses_vcc, 1
	.set _ZN2at6native13im2col_kernelIN3c104HalfEEEvlPKT_llllllllllllPS4_.uses_flat_scratch, 0
	.set _ZN2at6native13im2col_kernelIN3c104HalfEEEvlPKT_llllllllllllPS4_.has_dyn_sized_stack, 0
	.set _ZN2at6native13im2col_kernelIN3c104HalfEEEvlPKT_llllllllllllPS4_.has_recursion, 0
	.set _ZN2at6native13im2col_kernelIN3c104HalfEEEvlPKT_llllllllllllPS4_.has_indirect_call, 0
	.section	.AMDGPU.csdata,"",@progbits
; Kernel info:
; codeLenInByte = 2160
; TotalNumSgprs: 70
; NumVgprs: 22
; ScratchSize: 0
; MemoryBound: 0
; FloatMode: 240
; IeeeMode: 1
; LDSByteSize: 0 bytes/workgroup (compile time only)
; SGPRBlocks: 0
; VGPRBlocks: 1
; NumSGPRsForWavesPerEU: 70
; NumVGPRsForWavesPerEU: 22
; NamedBarCnt: 0
; Occupancy: 16
; WaveLimiterHint : 0
; COMPUTE_PGM_RSRC2:SCRATCH_EN: 0
; COMPUTE_PGM_RSRC2:USER_SGPR: 2
; COMPUTE_PGM_RSRC2:TRAP_HANDLER: 0
; COMPUTE_PGM_RSRC2:TGID_X_EN: 1
; COMPUTE_PGM_RSRC2:TGID_Y_EN: 0
; COMPUTE_PGM_RSRC2:TGID_Z_EN: 0
; COMPUTE_PGM_RSRC2:TIDIG_COMP_CNT: 0
	.section	.text._ZN2at6native13vol2im_kernelIN3c104HalfES3_EEvlPKT_jjjjjjjjjjjjjjjjjjjPS4_,"axG",@progbits,_ZN2at6native13vol2im_kernelIN3c104HalfES3_EEvlPKT_jjjjjjjjjjjjjjjjjjjPS4_,comdat
	.protected	_ZN2at6native13vol2im_kernelIN3c104HalfES3_EEvlPKT_jjjjjjjjjjjjjjjjjjjPS4_ ; -- Begin function _ZN2at6native13vol2im_kernelIN3c104HalfES3_EEvlPKT_jjjjjjjjjjjjjjjjjjjPS4_
	.globl	_ZN2at6native13vol2im_kernelIN3c104HalfES3_EEvlPKT_jjjjjjjjjjjjjjjjjjjPS4_
	.p2align	8
	.type	_ZN2at6native13vol2im_kernelIN3c104HalfES3_EEvlPKT_jjjjjjjjjjjjjjjjjjjPS4_,@function
_ZN2at6native13vol2im_kernelIN3c104HalfES3_EEvlPKT_jjjjjjjjjjjjjjjjjjjPS4_: ; @_ZN2at6native13vol2im_kernelIN3c104HalfES3_EEvlPKT_jjjjjjjjjjjjjjjjjjjPS4_
; %bb.0:
	s_clause 0x1
	s_load_b32 s2, s[0:1], 0x74
	s_load_b128 s[20:23], s[0:1], 0x0
	s_bfe_u32 s3, ttmp6, 0x4000c
	s_and_b32 s4, ttmp6, 15
	s_add_co_i32 s3, s3, 1
	s_getreg_b32 s5, hwreg(HW_REG_IB_STS2, 6, 4)
	s_mul_i32 s3, ttmp9, s3
	v_mov_b32_e32 v1, 0
	s_add_co_i32 s4, s4, s3
	s_mov_b32 s29, 0
	s_wait_kmcnt 0x0
	s_and_b32 s2, s2, 0xffff
	s_cmp_eq_u32 s5, 0
	s_cselect_b32 s3, ttmp9, s4
	s_delay_alu instid0(SALU_CYCLE_1) | instskip(SKIP_1) | instid1(VALU_DEP_1)
	v_mad_nc_u64_u32 v[2:3], s2, s3, v[0:1]
	s_mov_b32 s3, exec_lo
	v_cmpx_gt_i64_e64 s[20:21], v[2:3]
	s_cbranch_execz .LBB10_27
; %bb.1:
	s_clause 0x2
	s_load_b96 s[24:26], s[0:1], 0x10
	s_load_b256 s[4:11], s[0:1], 0x20
	s_load_b256 s[12:19], s[0:1], 0x40
	s_add_nc_u64 s[40:41], s[0:1], 0x68
	s_load_b64 s[30:31], s[0:1], 0x60
	s_wait_kmcnt 0x0
	s_mov_b32 s19, s29
	s_load_b32 s0, s[40:41], 0x0
	s_mov_b32 s35, s29
	s_mov_b32 s37, s29
	;; [unrolled: 1-line block ×8, first 2 shown]
	s_cvt_f32_u32 s36, s26
	s_wait_xcnt 0x0
	s_cvt_f32_u32 s40, s25
	s_cvt_f32_u32 s42, s24
	s_mul_i32 s1, s25, s26
	v_rcp_iflag_f32_e32 v0, s36
	v_rcp_iflag_f32_e32 v4, s40
	s_wait_kmcnt 0x0
	s_mul_i32 s36, s0, s2
	s_add_co_i32 s3, s6, -1
	v_rcp_iflag_f32_e32 v5, s42
	s_add_co_i32 s27, s5, -1
	s_mov_b32 s34, s6
	v_readfirstlane_b32 s0, v0
	v_readfirstlane_b32 s2, v4
	s_mul_i32 s6, s1, s24
	s_mul_i32 s1, s15, s3
	;; [unrolled: 1-line block ×3, first 2 shown]
	s_mul_f32 s0, s0, 0x4f7ffffe
	s_add_co_i32 s27, s1, 1
	s_cvt_f32_u32 s1, s6
	s_add_co_i32 s33, s4, -1
	s_mul_f32 s2, s2, 0x4f7ffffe
	s_cvt_u32_f32 s0, s0
	s_mul_i32 s60, s13, s33
	s_add_co_i32 s33, s3, 1
	v_readfirstlane_b32 s3, v5
	v_rcp_iflag_f32_e32 v0, s1
	s_sub_co_i32 s38, 0, s26
	s_cvt_u32_f32 s2, s2
	s_mul_i32 s38, s38, s0
	s_sub_co_i32 s41, 0, s25
	s_mul_f32 s1, s3, 0x4f7ffffe
	s_mul_hi_u32 s3, s0, s38
	s_mul_i32 s41, s41, s2
	s_add_co_i32 s38, s0, s3
	v_nop
	v_readfirstlane_b32 s0, v0
	s_mul_hi_u32 s40, s2, s41
	s_cvt_u32_f32 s1, s1
	s_add_co_i32 s40, s2, s40
	s_cvt_f32_u32 s2, s12
	s_mul_f32 s0, s0, 0x4f7ffffe
	s_sub_co_i32 s3, 0, s24
	s_sub_co_i32 s43, 0, s6
	v_rcp_iflag_f32_e32 v0, s2
	s_cvt_f32_u32 s2, s11
	s_mul_i32 s3, s3, s1
	s_cvt_u32_f32 s0, s0
	s_mul_hi_u32 s3, s1, s3
	v_rcp_iflag_f32_e32 v4, s2
	s_add_co_i32 s42, s1, s3
	s_mul_i32 s1, s43, s0
	v_nop
	v_readfirstlane_b32 s2, v0
	s_mul_hi_u32 s1, s0, s1
	s_cvt_f32_u32 s46, s13
	s_add_co_i32 s44, s0, s1
	s_cvt_f32_u32 s0, s10
	v_readfirstlane_b32 s3, v4
	s_mul_f32 s2, s2, 0x4f7ffffe
	s_cvt_f32_u32 s50, s15
	v_rcp_iflag_f32_e32 v0, s0
	s_mov_b32 s28, s5
	s_cvt_u32_f32 s1, s2
	s_mul_f32 s2, s3, 0x4f7ffffe
	s_sub_co_i32 s3, 0, s12
	v_rcp_iflag_f32_e32 v4, s50
	s_mul_i32 s3, s3, s1
	s_cvt_u32_f32 s0, s2
	v_readfirstlane_b32 s49, v0
	v_rcp_iflag_f32_e32 v0, s46
	s_sub_co_i32 s2, 0, s11
	s_mul_hi_u32 s3, s1, s3
	s_mul_i32 s2, s2, s0
	s_add_co_i32 s46, s1, s3
	s_mul_hi_u32 s1, s0, s2
	s_cvt_f32_u32 s2, s14
	s_add_co_i32 s48, s0, s1
	s_mul_f32 s0, s49, 0x4f7ffffe
	v_nop
	v_readfirstlane_b32 s1, v0
	v_rcp_iflag_f32_e32 v0, s2
	s_sub_co_i32 s3, 0, s10
	s_cvt_u32_f32 s0, s0
	s_mov_b32 s5, s17
	s_mul_f32 s1, s1, 0x4f7ffffe
	s_add_co_i32 s60, s60, 1
	s_mul_i32 s3, s3, s0
	v_nop
	v_readfirstlane_b32 s51, v0
	s_cvt_u32_f32 s1, s1
	s_mul_hi_u32 s2, s0, s3
	s_sub_co_i32 s3, 0, s13
	s_add_co_i32 s50, s0, s2
	v_readfirstlane_b32 s0, v4
	s_mul_i32 s3, s3, s1
	s_mov_b32 s41, s29
	s_mul_hi_u32 s2, s1, s3
	s_mul_f32 s3, s51, 0x4f7ffffe
	s_mul_f32 s0, s0, 0x4f7ffffe
	s_add_co_i32 s52, s1, s2
	s_sub_co_i32 s2, 0, s14
	s_cvt_u32_f32 s1, s3
	s_cvt_u32_f32 s0, s0
	s_sub_co_i32 s3, 0, s15
	s_mov_b32 s43, s29
	s_mul_i32 s2, s2, s1
	s_mul_i32 s3, s3, s0
	s_mul_hi_u32 s2, s1, s2
	s_mov_b32 s49, s29
	s_add_co_i32 s54, s1, s2
	s_mul_hi_u32 s1, s0, s3
	s_mov_b32 s51, s29
	s_add_co_i32 s56, s0, s1
	s_lshl_b64 s[58:59], s[18:19], 1
	s_branch .LBB10_4
.LBB10_2:                               ;   in Loop: Header=BB10_4 Depth=1
	s_or_b32 exec_lo, exec_lo, s62
.LBB10_3:                               ;   in Loop: Header=BB10_4 Depth=1
	s_delay_alu instid0(SALU_CYCLE_1) | instskip(SKIP_2) | instid1(VALU_DEP_2)
	s_or_b32 exec_lo, exec_lo, s61
	v_dual_mov_b32 v4, v1 :: v_dual_mov_b32 v5, v2
	v_add_nc_u64_e32 v[2:3], s[36:37], v[2:3]
	v_ashrrev_i64 v[4:5], 31, v[4:5]
	s_delay_alu instid0(VALU_DEP_2) | instskip(NEXT) | instid1(VALU_DEP_2)
	v_cmp_le_i64_e32 vcc_lo, s[20:21], v[2:3]
	v_add_nc_u64_e32 v[4:5], s[30:31], v[4:5]
	s_or_b32 s19, vcc_lo, s19
	global_store_b16 v[4:5], v7, off
	s_wait_xcnt 0x0
	s_and_not1_b32 exec_lo, exec_lo, s19
	s_cbranch_execz .LBB10_27
.LBB10_4:                               ; =>This Loop Header: Depth=1
                                        ;     Child Loop BB10_14 Depth 2
                                        ;       Child Loop BB10_18 Depth 3
                                        ;         Child Loop BB10_23 Depth 4
	v_mov_b32_e32 v0, v2
	s_mov_b32 s0, exec_lo
	s_delay_alu instid0(VALU_DEP_1) | instskip(NEXT) | instid1(VALU_DEP_1)
	v_mul_u64_e32 v[4:5], s[38:39], v[0:1]
	v_mul_lo_u32 v0, v5, s26
	s_delay_alu instid0(VALU_DEP_1) | instskip(NEXT) | instid1(VALU_DEP_1)
	v_dual_add_nc_u32 v4, 1, v5 :: v_dual_sub_nc_u32 v0, v2, v0
	v_subrev_nc_u32_e32 v6, s26, v0
	v_cmp_le_u32_e32 vcc_lo, s26, v0
	s_delay_alu instid0(VALU_DEP_2) | instskip(NEXT) | instid1(VALU_DEP_1)
	v_dual_cndmask_b32 v4, v5, v4, vcc_lo :: v_dual_cndmask_b32 v0, v0, v6, vcc_lo
	v_dual_mov_b32 v6, 0 :: v_dual_add_nc_u32 v5, 1, v4
	s_delay_alu instid0(VALU_DEP_2) | instskip(NEXT) | instid1(VALU_DEP_2)
	v_cmp_le_u32_e32 vcc_lo, s26, v0
	v_cndmask_b32_e32 v0, v4, v5, vcc_lo
	s_delay_alu instid0(VALU_DEP_1) | instskip(NEXT) | instid1(VALU_DEP_1)
	v_mul_lo_u32 v18, v0, s26
	v_sub_nc_u32_e32 v4, v2, v18
	s_delay_alu instid0(VALU_DEP_1) | instskip(NEXT) | instid1(VALU_DEP_1)
	v_dual_add_nc_u32 v14, s9, v4 :: v_dual_mov_b32 v4, 0
	v_cmpx_le_u32_e64 s27, v14
	s_cbranch_execz .LBB10_6
; %bb.5:                                ;   in Loop: Header=BB10_4 Depth=1
	v_subrev_nc_u32_e32 v6, s27, v14
	v_mov_b32_e32 v7, v1
	s_delay_alu instid0(VALU_DEP_1) | instskip(NEXT) | instid1(VALU_DEP_1)
	v_mul_u64_e32 v[8:9], s[46:47], v[6:7]
	v_mul_lo_u32 v5, v9, s12
	s_delay_alu instid0(VALU_DEP_1) | instskip(NEXT) | instid1(VALU_DEP_1)
	v_sub_nc_u32_e32 v5, v6, v5
	v_subrev_nc_u32_e32 v7, s12, v5
	v_cmp_le_u32_e32 vcc_lo, s12, v5
	s_delay_alu instid0(VALU_DEP_2) | instskip(NEXT) | instid1(VALU_DEP_1)
	v_dual_cndmask_b32 v5, v5, v7 :: v_dual_add_nc_u32 v6, 1, v9
	v_cndmask_b32_e32 v6, v9, v6, vcc_lo
	s_delay_alu instid0(VALU_DEP_2) | instskip(NEXT) | instid1(VALU_DEP_2)
	v_cmp_le_u32_e32 vcc_lo, s12, v5
	v_add_nc_u32_e32 v7, 1, v6
	s_delay_alu instid0(VALU_DEP_1) | instskip(NEXT) | instid1(VALU_DEP_1)
	v_cndmask_b32_e32 v5, v6, v7, vcc_lo
	v_add_nc_u32_e32 v6, 1, v5
.LBB10_6:                               ;   in Loop: Header=BB10_4 Depth=1
	s_or_b32 exec_lo, exec_lo, s0
	v_mul_u64_e32 v[8:9], s[40:41], v[0:1]
	s_mov_b32 s0, exec_lo
	v_mov_b32_e32 v10, 0
	s_delay_alu instid0(VALU_DEP_2) | instskip(SKIP_1) | instid1(VALU_DEP_2)
	v_mul_lo_u32 v5, v9, s25
	v_add_nc_u32_e32 v7, 1, v9
	v_sub_nc_u32_e32 v5, v0, v5
	s_delay_alu instid0(VALU_DEP_1) | instskip(NEXT) | instid1(VALU_DEP_3)
	v_cmp_le_u32_e32 vcc_lo, s25, v5
	v_cndmask_b32_e32 v7, v9, v7, vcc_lo
	v_subrev_nc_u32_e32 v8, s25, v5
	s_delay_alu instid0(VALU_DEP_1) | instskip(NEXT) | instid1(VALU_DEP_1)
	v_dual_cndmask_b32 v5, v5, v8 :: v_dual_add_nc_u32 v8, 1, v7
	v_cmp_le_u32_e32 vcc_lo, s25, v5
	s_delay_alu instid0(VALU_DEP_2) | instskip(NEXT) | instid1(VALU_DEP_1)
	v_cndmask_b32_e32 v12, v7, v8, vcc_lo
	v_mul_lo_u32 v5, v12, s25
	s_delay_alu instid0(VALU_DEP_1) | instskip(NEXT) | instid1(VALU_DEP_1)
	v_sub_nc_u32_e32 v0, v0, v5
	v_add_nc_u32_e32 v8, s8, v0
	s_delay_alu instid0(VALU_DEP_1)
	v_cmpx_le_u32_e64 s33, v8
	s_cbranch_execz .LBB10_8
; %bb.7:                                ;   in Loop: Header=BB10_4 Depth=1
	v_subrev_nc_u32_e32 v0, s33, v8
	s_delay_alu instid0(VALU_DEP_1) | instskip(NEXT) | instid1(VALU_DEP_1)
	v_mul_u64_e32 v[10:11], s[48:49], v[0:1]
	v_mul_lo_u32 v5, v11, s11
	s_delay_alu instid0(VALU_DEP_1) | instskip(NEXT) | instid1(VALU_DEP_1)
	v_dual_sub_nc_u32 v0, v0, v5 :: v_dual_add_nc_u32 v5, 1, v11
	v_subrev_nc_u32_e32 v7, s11, v0
	v_cmp_le_u32_e32 vcc_lo, s11, v0
	s_delay_alu instid0(VALU_DEP_2) | instskip(NEXT) | instid1(VALU_DEP_1)
	v_dual_cndmask_b32 v5, v11, v5 :: v_dual_cndmask_b32 v0, v0, v7
	v_add_nc_u32_e32 v7, 1, v5
	s_delay_alu instid0(VALU_DEP_2) | instskip(NEXT) | instid1(VALU_DEP_2)
	v_cmp_le_u32_e32 vcc_lo, s11, v0
	v_cndmask_b32_e32 v0, v5, v7, vcc_lo
	s_delay_alu instid0(VALU_DEP_1)
	v_add_nc_u32_e32 v10, 1, v0
.LBB10_8:                               ;   in Loop: Header=BB10_4 Depth=1
	s_or_b32 exec_lo, exec_lo, s0
	v_mov_b32_e32 v13, v1
	s_mov_b32 s0, exec_lo
	s_delay_alu instid0(VALU_DEP_1) | instskip(NEXT) | instid1(VALU_DEP_1)
	v_mul_u64_e32 v[16:17], s[42:43], v[12:13]
	v_mul_lo_u32 v0, v17, s24
	s_delay_alu instid0(VALU_DEP_1) | instskip(NEXT) | instid1(VALU_DEP_1)
	v_sub_nc_u32_e32 v0, v12, v0
	v_subrev_nc_u32_e32 v5, s24, v0
	v_cmp_le_u32_e32 vcc_lo, s24, v0
	s_delay_alu instid0(VALU_DEP_2) | instskip(NEXT) | instid1(VALU_DEP_1)
	v_cndmask_b32_e32 v0, v0, v5, vcc_lo
	v_subrev_nc_u32_e32 v5, s24, v0
	v_cmp_le_u32_e32 vcc_lo, s24, v0
	s_delay_alu instid0(VALU_DEP_2) | instskip(NEXT) | instid1(VALU_DEP_1)
	v_cndmask_b32_e32 v0, v0, v5, vcc_lo
	v_add_nc_u32_e32 v12, s7, v0
	s_delay_alu instid0(VALU_DEP_1)
	v_cmpx_le_u32_e64 s60, v12
	s_cbranch_execz .LBB10_10
; %bb.9:                                ;   in Loop: Header=BB10_4 Depth=1
	v_subrev_nc_u32_e32 v0, s60, v12
	s_delay_alu instid0(VALU_DEP_1) | instskip(NEXT) | instid1(VALU_DEP_1)
	v_mul_u64_e32 v[4:5], s[50:51], v[0:1]
	v_mul_lo_u32 v4, v5, s10
	s_delay_alu instid0(VALU_DEP_1) | instskip(NEXT) | instid1(VALU_DEP_1)
	v_dual_sub_nc_u32 v0, v0, v4 :: v_dual_add_nc_u32 v4, 1, v5
	v_subrev_nc_u32_e32 v7, s10, v0
	v_cmp_le_u32_e32 vcc_lo, s10, v0
	s_delay_alu instid0(VALU_DEP_2) | instskip(NEXT) | instid1(VALU_DEP_1)
	v_dual_cndmask_b32 v4, v5, v4, vcc_lo :: v_dual_cndmask_b32 v0, v0, v7, vcc_lo
	v_add_nc_u32_e32 v5, 1, v4
	s_delay_alu instid0(VALU_DEP_2) | instskip(NEXT) | instid1(VALU_DEP_2)
	v_cmp_le_u32_e32 vcc_lo, s10, v0
	v_cndmask_b32_e32 v0, v4, v5, vcc_lo
	s_delay_alu instid0(VALU_DEP_1)
	v_add_nc_u32_e32 v4, 1, v0
.LBB10_10:                              ;   in Loop: Header=BB10_4 Depth=1
	s_or_b32 exec_lo, exec_lo, s0
	v_mov_b32_e32 v13, v1
	s_mov_b32 s61, exec_lo
	s_delay_alu instid0(VALU_DEP_1) | instskip(NEXT) | instid1(VALU_DEP_1)
	v_mul_u64_e32 v[16:17], s[50:51], v[12:13]
	v_mul_lo_u32 v0, v17, s10
	s_delay_alu instid0(VALU_DEP_1) | instskip(NEXT) | instid1(VALU_DEP_1)
	v_sub_nc_u32_e32 v0, v12, v0
	v_subrev_nc_u32_e32 v7, s10, v0
	v_cmp_le_u32_e32 vcc_lo, s10, v0
	s_delay_alu instid0(VALU_DEP_2) | instskip(NEXT) | instid1(VALU_DEP_1)
	v_dual_cndmask_b32 v0, v0, v7 :: v_dual_add_nc_u32 v5, 1, v17
	v_cndmask_b32_e32 v5, v17, v5, vcc_lo
	s_delay_alu instid0(VALU_DEP_2) | instskip(NEXT) | instid1(VALU_DEP_2)
	v_cmp_le_u32_e32 vcc_lo, s10, v0
	v_add_nc_u32_e32 v7, 1, v5
	s_delay_alu instid0(VALU_DEP_1) | instskip(NEXT) | instid1(VALU_DEP_1)
	v_dual_cndmask_b32 v0, v5, v7 :: v_dual_mov_b32 v7, 0
	v_add_min_u32_e64 v13, v0, 1, s16
	s_delay_alu instid0(VALU_DEP_1)
	v_cmpx_lt_u32_e64 v4, v13
	s_cbranch_execz .LBB10_3
; %bb.11:                               ;   in Loop: Header=BB10_4 Depth=1
	v_dual_mov_b32 v9, v1 :: v_dual_mov_b32 v15, v1
	v_dual_mov_b32 v0, v2 :: v_dual_mov_b32 v11, v1
	s_mov_b32 s62, 0
	s_delay_alu instid0(VALU_DEP_2) | instskip(NEXT) | instid1(VALU_DEP_3)
	v_mul_u64_e32 v[16:17], s[48:49], v[8:9]
	v_mul_u64_e32 v[20:21], s[46:47], v[14:15]
	s_delay_alu instid0(VALU_DEP_3)
	v_mul_u64_e32 v[22:23], s[44:45], v[0:1]
	v_add_nc_u32_e32 v9, s9, v2
	v_mul_lo_u32 v16, s12, v6
	v_mul_lo_u32 v0, v17, s11
	;; [unrolled: 1-line block ×4, first 2 shown]
	v_dual_add_nc_u32 v22, 1, v23 :: v_dual_add_nc_u32 v19, 1, v17
	s_delay_alu instid0(VALU_DEP_4) | instskip(NEXT) | instid1(VALU_DEP_4)
	v_dual_add_nc_u32 v20, 1, v21 :: v_dual_sub_nc_u32 v0, v8, v0
	v_sub_nc_u32_e32 v5, v14, v5
	s_delay_alu instid0(VALU_DEP_2) | instskip(NEXT) | instid1(VALU_DEP_2)
	v_cmp_le_u32_e32 vcc_lo, s11, v0
	v_cmp_le_u32_e64 s0, s12, v5
	v_sub_nc_u32_e32 v7, v2, v7
	v_cndmask_b32_e32 v14, v17, v19, vcc_lo
	v_subrev_nc_u32_e32 v17, s11, v0
	s_delay_alu instid0(VALU_DEP_4) | instskip(NEXT) | instid1(VALU_DEP_4)
	v_cndmask_b32_e64 v19, v21, v20, s0
	v_cmp_le_u32_e64 s1, s6, v7
	v_subrev_nc_u32_e32 v20, s12, v5
	s_delay_alu instid0(VALU_DEP_2) | instskip(SKIP_2) | instid1(VALU_DEP_4)
	v_dual_cndmask_b32 v21, v23, v22, s1 :: v_dual_cndmask_b32 v0, v0, v17, vcc_lo
	v_add_nc_u32_e32 v17, 1, v14
	v_subrev_nc_u32_e32 v22, s6, v7
	v_dual_cndmask_b32 v5, v5, v20, s0 :: v_dual_add_nc_u32 v20, 1, v19
	s_delay_alu instid0(VALU_DEP_4) | instskip(NEXT) | instid1(VALU_DEP_3)
	v_cmp_le_u32_e32 vcc_lo, s11, v0
	v_dual_cndmask_b32 v7, v7, v22, s1 :: v_dual_add_nc_u32 v22, 1, v21
	v_cndmask_b32_e32 v0, v14, v17, vcc_lo
	s_delay_alu instid0(VALU_DEP_4) | instskip(SKIP_1) | instid1(VALU_DEP_4)
	v_cmp_le_u32_e32 vcc_lo, s12, v5
	v_cndmask_b32_e32 v5, v19, v20, vcc_lo
	v_cmp_le_u32_e32 vcc_lo, s6, v7
	v_mov_b32_e32 v7, v1
	v_sub_nc_u32_e32 v19, v9, v16
	v_add_min_u32_e64 v9, v0, 1, s17
	v_add_min_u32_e64 v28, v5, 1, s18
	v_cndmask_b32_e32 v14, v21, v22, vcc_lo
	v_mov_b32_e32 v5, v1
	v_lshl_add_u64 v[16:17], v[6:7], 1, s[22:23]
	v_mov_b32_e32 v7, 0
	v_cmp_lt_u32_e64 s0, v6, v28
	v_mul_lo_u32 v14, v14, s4
	v_sub_nc_u32_e32 v29, v19, v18
	v_cmp_lt_u32_e32 vcc_lo, v10, v9
	s_branch .LBB10_14
.LBB10_12:                              ;   in Loop: Header=BB10_14 Depth=2
	s_or_b32 exec_lo, exec_lo, s64
.LBB10_13:                              ;   in Loop: Header=BB10_14 Depth=2
	s_delay_alu instid0(SALU_CYCLE_1) | instskip(SKIP_1) | instid1(VALU_DEP_1)
	s_or_b32 exec_lo, exec_lo, s63
	v_add_nc_u64_e32 v[4:5], 1, v[4:5]
	v_cmp_ge_u32_e64 s1, v4, v13
	s_or_b32 s62, s1, s62
	s_delay_alu instid0(SALU_CYCLE_1)
	s_and_not1_b32 exec_lo, exec_lo, s62
	s_cbranch_execz .LBB10_2
.LBB10_14:                              ;   Parent Loop BB10_4 Depth=1
                                        ; =>  This Loop Header: Depth=2
                                        ;       Child Loop BB10_18 Depth 3
                                        ;         Child Loop BB10_23 Depth 4
	s_and_saveexec_b32 s63, vcc_lo
	s_cbranch_execz .LBB10_13
; %bb.15:                               ;   in Loop: Header=BB10_14 Depth=2
	v_mul_lo_u32 v0, v4, s10
	s_mov_b32 s64, 0
	s_delay_alu instid0(VALU_DEP_1) | instskip(NEXT) | instid1(VALU_DEP_1)
	v_sub_nc_u32_e32 v0, v12, v0
	v_mul_u64_e32 v[18:19], s[52:53], v[0:1]
	s_delay_alu instid0(VALU_DEP_1) | instskip(NEXT) | instid1(VALU_DEP_1)
	v_mul_lo_u32 v18, v19, s13
	v_dual_add_nc_u32 v20, 1, v19 :: v_dual_sub_nc_u32 v18, v0, v18
	s_delay_alu instid0(VALU_DEP_1) | instskip(NEXT) | instid1(VALU_DEP_1)
	v_cmp_le_u32_e64 s1, s13, v18
	v_cndmask_b32_e64 v19, v19, v20, s1
	v_subrev_nc_u32_e32 v21, s13, v18
	s_delay_alu instid0(VALU_DEP_1) | instskip(SKIP_1) | instid1(VALU_DEP_2)
	v_dual_add_nc_u32 v20, 1, v19 :: v_dual_cndmask_b32 v18, v18, v21, s1
	v_mov_b32_e32 v21, v1
	v_cmp_le_u32_e64 s1, s13, v18
	s_delay_alu instid0(VALU_DEP_1) | instskip(NEXT) | instid1(VALU_DEP_1)
	v_cndmask_b32_e64 v20, v19, v20, s1
	v_add_nc_u64_e32 v[18:19], v[20:21], v[14:15]
	v_mul_lo_u32 v20, v20, s13
	s_delay_alu instid0(VALU_DEP_2) | instskip(NEXT) | instid1(VALU_DEP_2)
	v_mul_u64_e32 v[18:19], s[28:29], v[18:19]
	v_sub_nc_u32_e32 v0, v0, v20
	v_mov_b64_e32 v[20:21], v[10:11]
	s_delay_alu instid0(VALU_DEP_2)
	v_cmp_eq_u32_e64 s1, 0, v0
	s_branch .LBB10_18
.LBB10_16:                              ;   in Loop: Header=BB10_18 Depth=3
	s_or_b32 exec_lo, exec_lo, s66
.LBB10_17:                              ;   in Loop: Header=BB10_18 Depth=3
	s_delay_alu instid0(SALU_CYCLE_1) | instskip(NEXT) | instid1(VALU_DEP_2)
	s_or_b32 exec_lo, exec_lo, s65
	v_add_nc_u64_e32 v[20:21], 1, v[20:21]
	s_delay_alu instid0(VALU_DEP_1) | instskip(SKIP_1) | instid1(SALU_CYCLE_1)
	v_cmp_ge_u32_e64 s2, v20, v9
	s_or_b32 s64, s2, s64
	s_and_not1_b32 exec_lo, exec_lo, s64
	s_cbranch_execz .LBB10_12
.LBB10_18:                              ;   Parent Loop BB10_4 Depth=1
                                        ;     Parent Loop BB10_14 Depth=2
                                        ; =>    This Loop Header: Depth=3
                                        ;         Child Loop BB10_23 Depth 4
	s_and_saveexec_b32 s65, s0
	s_cbranch_execz .LBB10_17
; %bb.19:                               ;   in Loop: Header=BB10_18 Depth=3
	s_delay_alu instid0(VALU_DEP_2) | instskip(SKIP_1) | instid1(VALU_DEP_1)
	v_mul_lo_u32 v0, v20, s11
	s_mov_b32 s66, 0
	v_dual_mov_b32 v30, v6 :: v_dual_sub_nc_u32 v0, v8, v0
	s_delay_alu instid0(VALU_DEP_1) | instskip(NEXT) | instid1(VALU_DEP_1)
	v_mul_u64_e32 v[22:23], s[54:55], v[0:1]
	v_mul_lo_u32 v22, v23, s14
	s_delay_alu instid0(VALU_DEP_1) | instskip(NEXT) | instid1(VALU_DEP_1)
	v_dual_add_nc_u32 v24, 1, v23 :: v_dual_sub_nc_u32 v22, v0, v22
	v_cmp_le_u32_e64 s2, s14, v22
	s_delay_alu instid0(VALU_DEP_1) | instskip(SKIP_1) | instid1(VALU_DEP_1)
	v_cndmask_b32_e64 v23, v23, v24, s2
	v_subrev_nc_u32_e32 v25, s14, v22
	v_dual_add_nc_u32 v24, 1, v23 :: v_dual_cndmask_b32 v22, v22, v25, s2
	v_mov_b32_e32 v25, v1
	s_delay_alu instid0(VALU_DEP_2) | instskip(NEXT) | instid1(VALU_DEP_1)
	v_cmp_le_u32_e64 s2, s14, v22
	v_cndmask_b32_e64 v24, v23, v24, s2
	s_delay_alu instid0(VALU_DEP_1) | instskip(SKIP_1) | instid1(VALU_DEP_2)
	v_add_nc_u64_e32 v[22:23], v[18:19], v[24:25]
	v_mul_lo_u32 v24, v24, s14
	v_mul_u64_e32 v[22:23], s[34:35], v[22:23]
	s_delay_alu instid0(VALU_DEP_2) | instskip(SKIP_1) | instid1(VALU_DEP_2)
	v_sub_nc_u32_e32 v0, v0, v24
	v_mov_b64_e32 v[24:25], v[16:17]
	v_cmp_eq_u32_e64 s2, 0, v0
	v_mov_b32_e32 v0, v29
	s_branch .LBB10_23
.LBB10_20:                              ;   in Loop: Header=BB10_23 Depth=4
	s_wait_xcnt 0x0
	s_or_b32 exec_lo, exec_lo, s69
.LBB10_21:                              ;   in Loop: Header=BB10_23 Depth=4
	s_delay_alu instid0(SALU_CYCLE_1)
	s_or_b32 exec_lo, exec_lo, s68
.LBB10_22:                              ;   in Loop: Header=BB10_23 Depth=4
	s_delay_alu instid0(SALU_CYCLE_1) | instskip(SKIP_3) | instid1(VALU_DEP_3)
	s_or_b32 exec_lo, exec_lo, s67
	v_add_nc_u32_e32 v30, 1, v30
	v_add_nc_u64_e32 v[24:25], 2, v[24:25]
	v_subrev_nc_u32_e32 v0, s12, v0
	v_cmp_ge_u32_e64 s3, v30, v28
	s_or_b32 s66, s3, s66
	s_delay_alu instid0(SALU_CYCLE_1)
	s_and_not1_b32 exec_lo, exec_lo, s66
	s_cbranch_execz .LBB10_16
.LBB10_23:                              ;   Parent Loop BB10_4 Depth=1
                                        ;     Parent Loop BB10_14 Depth=2
                                        ;       Parent Loop BB10_18 Depth=3
                                        ; =>      This Inner Loop Header: Depth=4
	s_and_saveexec_b32 s67, s1
	s_cbranch_execz .LBB10_22
; %bb.24:                               ;   in Loop: Header=BB10_23 Depth=4
	s_and_saveexec_b32 s68, s2
	s_cbranch_execz .LBB10_21
; %bb.25:                               ;   in Loop: Header=BB10_23 Depth=4
	v_mul_u64_e32 v[26:27], s[56:57], v[0:1]
	s_mov_b32 s69, exec_lo
	s_delay_alu instid0(VALU_DEP_1) | instskip(NEXT) | instid1(VALU_DEP_1)
	v_mul_lo_u32 v26, v27, s15
	v_dual_add_nc_u32 v31, 1, v27 :: v_dual_sub_nc_u32 v26, v0, v26
	s_delay_alu instid0(VALU_DEP_1) | instskip(SKIP_1) | instid1(VALU_DEP_1)
	v_subrev_nc_u32_e32 v32, s15, v26
	v_cmp_le_u32_e64 s3, s15, v26
	v_dual_cndmask_b32 v27, v27, v31, s3 :: v_dual_cndmask_b32 v26, v26, v32, s3
	s_delay_alu instid0(VALU_DEP_1) | instskip(NEXT) | instid1(VALU_DEP_2)
	v_add_nc_u32_e32 v31, 1, v27
	v_cmp_le_u32_e64 s3, s15, v26
	s_delay_alu instid0(VALU_DEP_1) | instskip(NEXT) | instid1(VALU_DEP_1)
	v_cndmask_b32_e64 v26, v27, v31, s3
	v_mul_lo_u32 v27, v26, s15
	s_delay_alu instid0(VALU_DEP_1) | instskip(NEXT) | instid1(VALU_DEP_1)
	v_sub_nc_u32_e32 v27, v0, v27
	v_cmpx_eq_u32_e32 0, v27
	s_cbranch_execz .LBB10_20
; %bb.26:                               ;   in Loop: Header=BB10_23 Depth=4
	v_mov_b32_e32 v27, v1
	s_delay_alu instid0(VALU_DEP_1) | instskip(NEXT) | instid1(VALU_DEP_1)
	v_add_nc_u64_e32 v[26:27], v[22:23], v[26:27]
	v_mad_nc_u64_u32 v[32:33], v26, s16, v[4:5]
	s_delay_alu instid0(VALU_DEP_1) | instskip(NEXT) | instid1(VALU_DEP_2)
	v_mad_nc_u64_u32 v[34:35], s5, v32, v[20:21]
	v_mad_u32 v31, v27, s16, v33
	s_delay_alu instid0(VALU_DEP_2) | instskip(NEXT) | instid1(VALU_DEP_2)
	v_mad_nc_u64_u32 v[26:27], s58, v34, v[24:25]
	v_mad_u32 v31, s5, v31, v35
	s_delay_alu instid0(VALU_DEP_2) | instskip(NEXT) | instid1(VALU_DEP_1)
	v_mad_u32 v27, s59, v34, v27
	v_mad_u32 v27, s58, v31, v27
	global_load_u16 v26, v[26:27], off
	s_wait_loadcnt 0x0
	v_add_f16_e32 v7, v7, v26
	s_branch .LBB10_20
.LBB10_27:
	s_endpgm
	.section	.rodata,"a",@progbits
	.p2align	6, 0x0
	.amdhsa_kernel _ZN2at6native13vol2im_kernelIN3c104HalfES3_EEvlPKT_jjjjjjjjjjjjjjjjjjjPS4_
		.amdhsa_group_segment_fixed_size 0
		.amdhsa_private_segment_fixed_size 0
		.amdhsa_kernarg_size 360
		.amdhsa_user_sgpr_count 2
		.amdhsa_user_sgpr_dispatch_ptr 0
		.amdhsa_user_sgpr_queue_ptr 0
		.amdhsa_user_sgpr_kernarg_segment_ptr 1
		.amdhsa_user_sgpr_dispatch_id 0
		.amdhsa_user_sgpr_kernarg_preload_length 0
		.amdhsa_user_sgpr_kernarg_preload_offset 0
		.amdhsa_user_sgpr_private_segment_size 0
		.amdhsa_wavefront_size32 1
		.amdhsa_uses_dynamic_stack 0
		.amdhsa_enable_private_segment 0
		.amdhsa_system_sgpr_workgroup_id_x 1
		.amdhsa_system_sgpr_workgroup_id_y 0
		.amdhsa_system_sgpr_workgroup_id_z 0
		.amdhsa_system_sgpr_workgroup_info 0
		.amdhsa_system_vgpr_workitem_id 0
		.amdhsa_next_free_vgpr 36
		.amdhsa_next_free_sgpr 70
		.amdhsa_named_barrier_count 0
		.amdhsa_reserve_vcc 1
		.amdhsa_float_round_mode_32 0
		.amdhsa_float_round_mode_16_64 0
		.amdhsa_float_denorm_mode_32 3
		.amdhsa_float_denorm_mode_16_64 3
		.amdhsa_fp16_overflow 0
		.amdhsa_memory_ordered 1
		.amdhsa_forward_progress 1
		.amdhsa_inst_pref_size 20
		.amdhsa_round_robin_scheduling 0
		.amdhsa_exception_fp_ieee_invalid_op 0
		.amdhsa_exception_fp_denorm_src 0
		.amdhsa_exception_fp_ieee_div_zero 0
		.amdhsa_exception_fp_ieee_overflow 0
		.amdhsa_exception_fp_ieee_underflow 0
		.amdhsa_exception_fp_ieee_inexact 0
		.amdhsa_exception_int_div_zero 0
	.end_amdhsa_kernel
	.section	.text._ZN2at6native13vol2im_kernelIN3c104HalfES3_EEvlPKT_jjjjjjjjjjjjjjjjjjjPS4_,"axG",@progbits,_ZN2at6native13vol2im_kernelIN3c104HalfES3_EEvlPKT_jjjjjjjjjjjjjjjjjjjPS4_,comdat
.Lfunc_end10:
	.size	_ZN2at6native13vol2im_kernelIN3c104HalfES3_EEvlPKT_jjjjjjjjjjjjjjjjjjjPS4_, .Lfunc_end10-_ZN2at6native13vol2im_kernelIN3c104HalfES3_EEvlPKT_jjjjjjjjjjjjjjjjjjjPS4_
                                        ; -- End function
	.set _ZN2at6native13vol2im_kernelIN3c104HalfES3_EEvlPKT_jjjjjjjjjjjjjjjjjjjPS4_.num_vgpr, 36
	.set _ZN2at6native13vol2im_kernelIN3c104HalfES3_EEvlPKT_jjjjjjjjjjjjjjjjjjjPS4_.num_agpr, 0
	.set _ZN2at6native13vol2im_kernelIN3c104HalfES3_EEvlPKT_jjjjjjjjjjjjjjjjjjjPS4_.numbered_sgpr, 70
	.set _ZN2at6native13vol2im_kernelIN3c104HalfES3_EEvlPKT_jjjjjjjjjjjjjjjjjjjPS4_.num_named_barrier, 0
	.set _ZN2at6native13vol2im_kernelIN3c104HalfES3_EEvlPKT_jjjjjjjjjjjjjjjjjjjPS4_.private_seg_size, 0
	.set _ZN2at6native13vol2im_kernelIN3c104HalfES3_EEvlPKT_jjjjjjjjjjjjjjjjjjjPS4_.uses_vcc, 1
	.set _ZN2at6native13vol2im_kernelIN3c104HalfES3_EEvlPKT_jjjjjjjjjjjjjjjjjjjPS4_.uses_flat_scratch, 0
	.set _ZN2at6native13vol2im_kernelIN3c104HalfES3_EEvlPKT_jjjjjjjjjjjjjjjjjjjPS4_.has_dyn_sized_stack, 0
	.set _ZN2at6native13vol2im_kernelIN3c104HalfES3_EEvlPKT_jjjjjjjjjjjjjjjjjjjPS4_.has_recursion, 0
	.set _ZN2at6native13vol2im_kernelIN3c104HalfES3_EEvlPKT_jjjjjjjjjjjjjjjjjjjPS4_.has_indirect_call, 0
	.section	.AMDGPU.csdata,"",@progbits
; Kernel info:
; codeLenInByte = 2484
; TotalNumSgprs: 72
; NumVgprs: 36
; ScratchSize: 0
; MemoryBound: 0
; FloatMode: 240
; IeeeMode: 1
; LDSByteSize: 0 bytes/workgroup (compile time only)
; SGPRBlocks: 0
; VGPRBlocks: 2
; NumSGPRsForWavesPerEU: 72
; NumVGPRsForWavesPerEU: 36
; NamedBarCnt: 0
; Occupancy: 16
; WaveLimiterHint : 0
; COMPUTE_PGM_RSRC2:SCRATCH_EN: 0
; COMPUTE_PGM_RSRC2:USER_SGPR: 2
; COMPUTE_PGM_RSRC2:TRAP_HANDLER: 0
; COMPUTE_PGM_RSRC2:TGID_X_EN: 1
; COMPUTE_PGM_RSRC2:TGID_Y_EN: 0
; COMPUTE_PGM_RSRC2:TGID_Z_EN: 0
; COMPUTE_PGM_RSRC2:TIDIG_COMP_CNT: 0
	.section	.text._ZN2at6native13col2im_kernelIN3c104HalfES3_EEvlPKT_llllllllllllPS4_,"axG",@progbits,_ZN2at6native13col2im_kernelIN3c104HalfES3_EEvlPKT_llllllllllllPS4_,comdat
	.protected	_ZN2at6native13col2im_kernelIN3c104HalfES3_EEvlPKT_llllllllllllPS4_ ; -- Begin function _ZN2at6native13col2im_kernelIN3c104HalfES3_EEvlPKT_llllllllllllPS4_
	.globl	_ZN2at6native13col2im_kernelIN3c104HalfES3_EEvlPKT_llllllllllllPS4_
	.p2align	8
	.type	_ZN2at6native13col2im_kernelIN3c104HalfES3_EEvlPKT_llllllllllllPS4_,@function
_ZN2at6native13col2im_kernelIN3c104HalfES3_EEvlPKT_llllllllllllPS4_: ; @_ZN2at6native13col2im_kernelIN3c104HalfES3_EEvlPKT_llllllllllllPS4_
; %bb.0:
	s_load_b32 s2, s[0:1], 0x84
	s_bfe_u32 s4, ttmp6, 0x4000c
	v_mov_b32_e32 v2, 0
	s_add_co_i32 s21, s4, 1
	s_load_b512 s[4:19], s[0:1], 0x0
	s_and_b32 s3, ttmp6, 15
	s_mul_i32 s21, ttmp9, s21
	s_getreg_b32 s20, hwreg(HW_REG_IB_STS2, 6, 4)
	v_mov_b32_e32 v1, v2
	s_add_co_i32 s3, s3, s21
	s_wait_kmcnt 0x0
	s_and_b32 s2, s2, 0xffff
	s_cmp_eq_u32 s20, 0
	s_mov_b32 s20, exec_lo
	s_cselect_b32 s3, ttmp9, s3
	s_delay_alu instid0(SALU_CYCLE_1) | instskip(SKIP_1) | instid1(VALU_DEP_1)
	v_mad_nc_u64_u32 v[0:1], s2, s3, v[0:1]
	s_mov_b32 s3, 0
	v_cmpx_gt_i64_e64 s[4:5], v[0:1]
	s_cbranch_execz .LBB11_55
; %bb.1:
	s_clause 0x1
	s_load_b256 s[20:27], s[0:1], 0x40
	s_load_b256 s[36:43], s[0:1], 0x60
	s_wait_xcnt 0x0
	s_add_nc_u64 s[0:1], s[0:1], 0x78
	v_cvt_f32_u32_e32 v3, s10
	s_load_b32 s30, s[0:1], 0x0
	s_wait_xcnt 0x0
	s_add_nc_u64 s[0:1], s[14:15], -1
	s_add_nc_u64 s[46:47], s[12:13], -1
	s_mul_u64 s[28:29], s[10:11], s[8:9]
	v_rcp_iflag_f32_e32 v3, v3
	s_mov_b32 s31, s3
	s_mov_b64 s[34:35], 0xffffffff
	s_wait_kmcnt 0x0
	s_ashr_i32 s42, s11, 31
	s_mov_b32 s33, 0
	v_nop
	v_mul_f32_e32 v3, 0x4f7ffffe, v3
	s_delay_alu instid0(VALU_DEP_1)
	v_cvt_u32_f32_e32 v32, v3
	s_mul_u64 s[44:45], s[26:27], s[0:1]
	s_mul_u64 s[46:47], s[24:25], s[46:47]
	s_lshl_b64 s[48:49], s[38:39], 1
	s_not_b64 s[50:51], s[46:47]
	s_not_b64 s[52:53], s[44:45]
	s_mul_i32 s30, s30, s2
	s_branch .LBB11_4
.LBB11_2:                               ;   in Loop: Header=BB11_4 Depth=1
	s_or_b32 exec_lo, exec_lo, s58
.LBB11_3:                               ;   in Loop: Header=BB11_4 Depth=1
	s_delay_alu instid0(SALU_CYCLE_1)
	s_or_b32 exec_lo, exec_lo, s43
	v_add_nc_u64_e32 v[0:1], s[30:31], v[0:1]
	v_lshl_add_u64 v[4:5], v[4:5], 1, s[40:41]
	global_store_b16 v[4:5], v33, off
	v_cmp_le_i64_e32 vcc_lo, s[4:5], v[0:1]
	s_or_b32 s33, vcc_lo, s33
	s_wait_xcnt 0x0
	s_and_not1_b32 exec_lo, exec_lo, s33
	s_cbranch_execz .LBB11_55
.LBB11_4:                               ; =>This Loop Header: Depth=1
                                        ;     Child Loop BB11_40 Depth 2
                                        ;       Child Loop BB11_48 Depth 3
	v_dual_mov_b32 v4, v0 :: v_dual_ashrrev_i32 v5, 31, v0
                                        ; implicit-def: $vgpr12_vgpr13
	s_mov_b32 s0, exec_lo
	s_delay_alu instid0(VALU_DEP_1) | instskip(NEXT) | instid1(VALU_DEP_1)
	v_dual_ashrrev_i32 v6, 31, v5 :: v_dual_bitop2_b32 v3, s11, v5 bitop3:0x54
	v_cmpx_ne_u64_e32 0, v[2:3]
	s_xor_b32 s1, exec_lo, s0
	s_cbranch_execz .LBB11_6
; %bb.5:                                ;   in Loop: Header=BB11_4 Depth=1
	s_mov_b32 s43, s42
	v_dual_mov_b32 v7, v6 :: v_dual_mov_b32 v11, v2
	s_add_nc_u64 s[54:55], s[10:11], s[42:43]
	v_mov_b32_e32 v15, v2
	s_xor_b64 s[54:55], s[54:55], s[42:43]
	s_delay_alu instid0(VALU_DEP_2) | instskip(SKIP_4) | instid1(SALU_CYCLE_1)
	v_add_nc_u64_e32 v[8:9], v[4:5], v[6:7]
	s_cvt_f32_u32 s0, s54
	s_cvt_f32_u32 s2, s55
	s_sub_nc_u64 s[58:59], 0, s[54:55]
	v_mov_b32_e32 v19, v2
	s_fmamk_f32 s0, s2, 0x4f800000, s0
	s_delay_alu instid0(VALU_DEP_2) | instskip(SKIP_1) | instid1(SALU_CYCLE_1)
	v_xor_b32_e32 v10, v8, v6
	v_xor_b32_e32 v14, v9, v6
	v_s_rcp_f32 s0, s0
	s_delay_alu instid0(TRANS32_DEP_1) | instskip(NEXT) | instid1(SALU_CYCLE_3)
	s_mul_f32 s0, s0, 0x5f7ffffc
	s_mul_f32 s2, s0, 0x2f800000
	s_delay_alu instid0(SALU_CYCLE_3) | instskip(NEXT) | instid1(SALU_CYCLE_3)
	s_trunc_f32 s2, s2
	s_fmamk_f32 s0, s2, 0xcf800000, s0
	s_cvt_u32_f32 s57, s2
	s_delay_alu instid0(SALU_CYCLE_2) | instskip(NEXT) | instid1(SALU_CYCLE_3)
	s_cvt_u32_f32 s56, s0
	s_mul_u64 s[60:61], s[58:59], s[56:57]
	s_delay_alu instid0(SALU_CYCLE_1)
	s_mul_hi_u32 s63, s56, s61
	s_mul_i32 s62, s56, s61
	s_mul_hi_u32 s2, s56, s60
	s_mul_i32 s43, s57, s60
	s_add_nc_u64 s[62:63], s[2:3], s[62:63]
	s_mul_hi_u32 s0, s57, s60
	s_mul_hi_u32 s64, s57, s61
	s_add_co_u32 s2, s62, s43
	s_add_co_ci_u32 s2, s63, s0
	s_mul_i32 s60, s57, s61
	s_add_co_ci_u32 s61, s64, 0
	s_delay_alu instid0(SALU_CYCLE_1) | instskip(NEXT) | instid1(SALU_CYCLE_1)
	s_add_nc_u64 s[60:61], s[2:3], s[60:61]
	s_add_co_u32 s56, s56, s60
	s_cselect_b32 s0, -1, 0
	s_delay_alu instid0(SALU_CYCLE_1) | instskip(SKIP_1) | instid1(SALU_CYCLE_1)
	s_cmp_lg_u32 s0, 0
	s_add_co_ci_u32 s57, s57, s61
	s_mul_u64 s[58:59], s[58:59], s[56:57]
	s_delay_alu instid0(SALU_CYCLE_1)
	s_mul_hi_u32 s61, s56, s59
	s_mul_i32 s60, s56, s59
	s_mul_hi_u32 s2, s56, s58
	s_mul_i32 s43, s57, s58
	s_add_nc_u64 s[60:61], s[2:3], s[60:61]
	s_mul_hi_u32 s0, s57, s58
	s_mul_hi_u32 s62, s57, s59
	s_add_co_u32 s2, s60, s43
	s_add_co_ci_u32 s2, s61, s0
	s_mul_i32 s58, s57, s59
	s_add_co_ci_u32 s59, s62, 0
	s_delay_alu instid0(SALU_CYCLE_1) | instskip(NEXT) | instid1(SALU_CYCLE_1)
	s_add_nc_u64 s[58:59], s[2:3], s[58:59]
	s_add_co_u32 s0, s56, s58
	s_cselect_b32 s2, -1, 0
	v_nop
	v_mul_hi_u32 v18, v10, s0
	s_cmp_lg_u32 s2, 0
	s_add_co_ci_u32 s2, s57, s59
	s_and_b64 s[56:57], s[0:1], s[34:35]
	v_mul_u64_e32 v[12:13], s[2:3], v[10:11]
	v_mul_u64_e32 v[8:9], s[56:57], v[14:15]
	;; [unrolled: 1-line block ×3, first 2 shown]
	s_delay_alu instid0(VALU_DEP_3) | instskip(NEXT) | instid1(VALU_DEP_1)
	v_add_nc_u64_e32 v[12:13], v[18:19], v[12:13]
	v_add_co_u32 v3, vcc_lo, v12, v8
	s_delay_alu instid0(VALU_DEP_2) | instskip(NEXT) | instid1(VALU_DEP_4)
	v_add_co_ci_u32_e32 v18, vcc_lo, v13, v9, vcc_lo
	v_add_co_ci_u32_e32 v17, vcc_lo, 0, v17, vcc_lo
	s_delay_alu instid0(VALU_DEP_1) | instskip(NEXT) | instid1(VALU_DEP_1)
	v_add_nc_u64_e32 v[8:9], v[18:19], v[16:17]
	v_mul_u64_e32 v[12:13], s[54:55], v[8:9]
	s_delay_alu instid0(VALU_DEP_1) | instskip(NEXT) | instid1(VALU_DEP_2)
	v_sub_nc_u32_e32 v3, v14, v13
	v_sub_co_u32 v7, vcc_lo, v10, v12
	s_delay_alu instid0(VALU_DEP_1) | instskip(NEXT) | instid1(VALU_DEP_3)
	v_sub_co_ci_u32_e64 v14, null, v14, v13, vcc_lo
	v_subrev_co_ci_u32_e64 v3, null, s55, v3, vcc_lo
	s_delay_alu instid0(VALU_DEP_3) | instskip(SKIP_1) | instid1(VALU_DEP_3)
	v_sub_co_u32 v10, s0, v7, s54
	v_add_nc_u64_e32 v[12:13], 1, v[8:9]
	v_subrev_co_ci_u32_e64 v3, null, 0, v3, s0
	s_delay_alu instid0(VALU_DEP_3) | instskip(SKIP_1) | instid1(VALU_DEP_3)
	v_cmp_le_u32_e32 vcc_lo, s54, v10
	v_cndmask_b32_e64 v10, 0, -1, vcc_lo
	v_cmp_le_u32_e32 vcc_lo, s55, v3
	v_cndmask_b32_e64 v11, 0, -1, vcc_lo
	;; [unrolled: 2-line block ×4, first 2 shown]
	v_cmp_eq_u32_e32 vcc_lo, s55, v3
	v_cndmask_b32_e32 v3, v11, v10, vcc_lo
	v_cmp_eq_u32_e32 vcc_lo, s55, v14
	v_add_nc_u64_e32 v[10:11], 2, v[8:9]
	v_cndmask_b32_e32 v7, v15, v7, vcc_lo
	s_delay_alu instid0(VALU_DEP_4) | instskip(NEXT) | instid1(VALU_DEP_2)
	v_cmp_ne_u32_e32 vcc_lo, 0, v3
	v_cmp_ne_u32_e64 s0, 0, v7
	s_delay_alu instid0(VALU_DEP_4) | instskip(NEXT) | instid1(VALU_DEP_1)
	v_dual_cndmask_b32 v3, v13, v11, vcc_lo :: v_dual_cndmask_b32 v7, v12, v10, vcc_lo
	v_dual_cndmask_b32 v3, v9, v3, s0 :: v_dual_bitop2_b32 v10, s42, v6 bitop3:0x14
	s_delay_alu instid0(VALU_DEP_1) | instskip(NEXT) | instid1(VALU_DEP_2)
	v_dual_mov_b32 v11, v10 :: v_dual_cndmask_b32 v7, v8, v7, s0
	v_xor_b32_e32 v9, v3, v10
	s_delay_alu instid0(VALU_DEP_2) | instskip(NEXT) | instid1(VALU_DEP_1)
	v_xor_b32_e32 v8, v7, v10
	v_sub_nc_u64_e32 v[12:13], v[8:9], v[10:11]
.LBB11_6:                               ;   in Loop: Header=BB11_4 Depth=1
	s_and_not1_saveexec_b32 s0, s1
	s_cbranch_execz .LBB11_8
; %bb.7:                                ;   in Loop: Header=BB11_4 Depth=1
	s_sub_co_i32 s1, 0, s10
	v_mov_b32_e32 v13, v2
	v_mul_lo_u32 v3, s1, v32
	s_delay_alu instid0(VALU_DEP_1) | instskip(NEXT) | instid1(VALU_DEP_1)
	v_mul_hi_u32 v3, v32, v3
	v_add_nc_u32_e32 v3, v32, v3
	s_delay_alu instid0(VALU_DEP_1) | instskip(NEXT) | instid1(VALU_DEP_1)
	v_mul_hi_u32 v3, v4, v3
	v_mul_lo_u32 v7, v3, s10
	v_add_nc_u32_e32 v8, 1, v3
	s_delay_alu instid0(VALU_DEP_2) | instskip(NEXT) | instid1(VALU_DEP_1)
	v_sub_nc_u32_e32 v7, v4, v7
	v_cmp_le_u32_e32 vcc_lo, s10, v7
	s_delay_alu instid0(VALU_DEP_3) | instskip(SKIP_1) | instid1(VALU_DEP_1)
	v_cndmask_b32_e32 v3, v3, v8, vcc_lo
	v_subrev_nc_u32_e32 v9, s10, v7
	v_dual_cndmask_b32 v7, v7, v9 :: v_dual_add_nc_u32 v8, 1, v3
	s_delay_alu instid0(VALU_DEP_1) | instskip(NEXT) | instid1(VALU_DEP_2)
	v_cmp_le_u32_e32 vcc_lo, s10, v7
	v_cndmask_b32_e32 v12, v3, v8, vcc_lo
.LBB11_8:                               ;   in Loop: Header=BB11_4 Depth=1
	s_or_b32 exec_lo, exec_lo, s0
	s_delay_alu instid0(VALU_DEP_1) | instskip(SKIP_1) | instid1(VALU_DEP_1)
	v_or_b32_e32 v3, s9, v13
                                        ; implicit-def: $vgpr8_vgpr9
	s_mov_b32 s0, exec_lo
	v_cmpx_ne_u64_e32 0, v[2:3]
	s_xor_b32 s1, exec_lo, s0
	s_cbranch_execz .LBB11_10
; %bb.9:                                ;   in Loop: Header=BB11_4 Depth=1
	s_ashr_i32 s54, s9, 31
	v_dual_mov_b32 v15, v2 :: v_dual_ashrrev_i32 v8, 31, v13
	s_mov_b32 s55, s54
	v_mov_b32_e32 v23, v2
	s_add_nc_u64 s[56:57], s[8:9], s[54:55]
	s_delay_alu instid0(VALU_DEP_2) | instskip(SKIP_1) | instid1(SALU_CYCLE_1)
	v_mov_b32_e32 v9, v8
	s_xor_b64 s[54:55], s[56:57], s[54:55]
	s_cvt_f32_u32 s0, s54
	s_cvt_f32_u32 s2, s55
	s_sub_nc_u64 s[58:59], 0, s[54:55]
	v_add_nc_u64_e32 v[10:11], v[12:13], v[8:9]
	v_mov_b32_e32 v19, v2
	s_fmamk_f32 s0, s2, 0x4f800000, s0
	s_delay_alu instid0(SALU_CYCLE_3) | instskip(NEXT) | instid1(VALU_DEP_2)
	v_s_rcp_f32 s0, s0
	v_xor_b32_e32 v14, v10, v8
	s_delay_alu instid0(VALU_DEP_3) | instskip(NEXT) | instid1(TRANS32_DEP_1)
	v_xor_b32_e32 v18, v11, v8
	s_mul_f32 s0, s0, 0x5f7ffffc
	s_delay_alu instid0(SALU_CYCLE_3) | instskip(NEXT) | instid1(SALU_CYCLE_3)
	s_mul_f32 s2, s0, 0x2f800000
	s_trunc_f32 s2, s2
	s_delay_alu instid0(SALU_CYCLE_3) | instskip(SKIP_1) | instid1(SALU_CYCLE_2)
	s_fmamk_f32 s0, s2, 0xcf800000, s0
	s_cvt_u32_f32 s57, s2
	s_cvt_u32_f32 s56, s0
	s_delay_alu instid0(SALU_CYCLE_3) | instskip(NEXT) | instid1(SALU_CYCLE_1)
	s_mul_u64 s[60:61], s[58:59], s[56:57]
	s_mul_hi_u32 s63, s56, s61
	s_mul_i32 s62, s56, s61
	s_mul_hi_u32 s2, s56, s60
	s_mul_i32 s43, s57, s60
	s_add_nc_u64 s[62:63], s[2:3], s[62:63]
	s_mul_hi_u32 s0, s57, s60
	s_mul_hi_u32 s64, s57, s61
	s_add_co_u32 s2, s62, s43
	s_add_co_ci_u32 s2, s63, s0
	s_mul_i32 s60, s57, s61
	s_add_co_ci_u32 s61, s64, 0
	s_delay_alu instid0(SALU_CYCLE_1) | instskip(NEXT) | instid1(SALU_CYCLE_1)
	s_add_nc_u64 s[60:61], s[2:3], s[60:61]
	s_add_co_u32 s56, s56, s60
	s_cselect_b32 s0, -1, 0
	s_delay_alu instid0(SALU_CYCLE_1) | instskip(SKIP_1) | instid1(SALU_CYCLE_1)
	s_cmp_lg_u32 s0, 0
	s_add_co_ci_u32 s57, s57, s61
	s_mul_u64 s[58:59], s[58:59], s[56:57]
	s_delay_alu instid0(SALU_CYCLE_1)
	s_mul_hi_u32 s61, s56, s59
	s_mul_i32 s60, s56, s59
	s_mul_hi_u32 s2, s56, s58
	s_mul_i32 s43, s57, s58
	s_add_nc_u64 s[60:61], s[2:3], s[60:61]
	s_mul_hi_u32 s0, s57, s58
	s_mul_hi_u32 s62, s57, s59
	s_add_co_u32 s2, s60, s43
	s_add_co_ci_u32 s2, s61, s0
	s_mul_i32 s58, s57, s59
	s_add_co_ci_u32 s59, s62, 0
	s_delay_alu instid0(SALU_CYCLE_1) | instskip(NEXT) | instid1(SALU_CYCLE_1)
	s_add_nc_u64 s[58:59], s[2:3], s[58:59]
	s_add_co_u32 s0, s56, s58
	s_cselect_b32 s2, -1, 0
	v_mul_hi_u32 v22, v14, s0
	s_cmp_lg_u32 s2, 0
	s_add_co_ci_u32 s2, s57, s59
	s_and_b64 s[56:57], s[0:1], s[34:35]
	v_mul_u64_e32 v[16:17], s[2:3], v[14:15]
	v_mul_u64_e32 v[10:11], s[56:57], v[18:19]
	;; [unrolled: 1-line block ×3, first 2 shown]
	s_delay_alu instid0(VALU_DEP_3) | instskip(NEXT) | instid1(VALU_DEP_1)
	v_add_nc_u64_e32 v[16:17], v[22:23], v[16:17]
	v_add_co_u32 v3, vcc_lo, v16, v10
	s_delay_alu instid0(VALU_DEP_2) | instskip(NEXT) | instid1(VALU_DEP_4)
	v_add_co_ci_u32_e32 v22, vcc_lo, v17, v11, vcc_lo
	v_add_co_ci_u32_e32 v21, vcc_lo, 0, v21, vcc_lo
	s_delay_alu instid0(VALU_DEP_1) | instskip(NEXT) | instid1(VALU_DEP_1)
	v_add_nc_u64_e32 v[10:11], v[22:23], v[20:21]
	v_mul_u64_e32 v[10:11], s[54:55], v[10:11]
	s_delay_alu instid0(VALU_DEP_1) | instskip(NEXT) | instid1(VALU_DEP_2)
	v_sub_nc_u32_e32 v3, v18, v11
	v_sub_co_u32 v7, vcc_lo, v14, v10
	s_delay_alu instid0(VALU_DEP_1) | instskip(NEXT) | instid1(VALU_DEP_3)
	v_sub_co_ci_u32_e64 v10, null, v18, v11, vcc_lo
	v_subrev_co_ci_u32_e64 v3, null, s55, v3, vcc_lo
	s_delay_alu instid0(VALU_DEP_3) | instskip(SKIP_1) | instid1(VALU_DEP_3)
	v_sub_co_u32 v11, vcc_lo, v7, s54
	v_cmp_le_u32_e64 s0, s54, v7
	v_subrev_co_ci_u32_e64 v14, null, 0, v3, vcc_lo
	v_subrev_co_ci_u32_e64 v3, null, s55, v3, vcc_lo
	s_delay_alu instid0(VALU_DEP_3) | instskip(SKIP_2) | instid1(VALU_DEP_2)
	v_cndmask_b32_e64 v15, 0, -1, s0
	v_cmp_le_u32_e64 s0, s54, v11
	v_cmp_le_u32_e32 vcc_lo, s55, v10
	v_cndmask_b32_e64 v16, 0, -1, s0
	v_cmp_le_u32_e64 s0, s55, v14
	v_cndmask_b32_e64 v18, 0, -1, vcc_lo
	v_cmp_eq_u32_e32 vcc_lo, s55, v14
	s_delay_alu instid0(VALU_DEP_3) | instskip(SKIP_1) | instid1(VALU_DEP_2)
	v_cndmask_b32_e64 v17, 0, -1, s0
	v_cmp_eq_u32_e64 s0, s55, v10
	v_cndmask_b32_e32 v16, v17, v16, vcc_lo
	v_sub_co_u32 v17, vcc_lo, v11, s54
	s_delay_alu instid0(VALU_DEP_1) | instskip(NEXT) | instid1(VALU_DEP_3)
	v_subrev_co_ci_u32_e64 v3, null, 0, v3, vcc_lo
	v_cmp_ne_u32_e32 vcc_lo, 0, v16
	v_cndmask_b32_e64 v15, v18, v15, s0
	s_delay_alu instid0(VALU_DEP_3) | instskip(NEXT) | instid1(VALU_DEP_2)
	v_dual_cndmask_b32 v3, v14, v3, vcc_lo :: v_dual_cndmask_b32 v11, v11, v17, vcc_lo
	v_cmp_ne_u32_e32 vcc_lo, 0, v15
	s_delay_alu instid0(VALU_DEP_2) | instskip(NEXT) | instid1(VALU_DEP_3)
	v_cndmask_b32_e32 v3, v10, v3, vcc_lo
	v_cndmask_b32_e32 v7, v7, v11, vcc_lo
	s_delay_alu instid0(VALU_DEP_2) | instskip(NEXT) | instid1(VALU_DEP_2)
	v_xor_b32_e32 v11, v3, v8
	v_xor_b32_e32 v10, v7, v8
	s_delay_alu instid0(VALU_DEP_1)
	v_sub_nc_u64_e32 v[8:9], v[10:11], v[8:9]
.LBB11_10:                              ;   in Loop: Header=BB11_4 Depth=1
	s_and_not1_saveexec_b32 s0, s1
	s_cbranch_execz .LBB11_12
; %bb.11:                               ;   in Loop: Header=BB11_4 Depth=1
	v_cvt_f32_u32_e32 v3, s8
	s_sub_co_i32 s1, 0, s8
	v_mov_b32_e32 v9, v2
	s_delay_alu instid0(VALU_DEP_2) | instskip(SKIP_1) | instid1(TRANS32_DEP_1)
	v_rcp_iflag_f32_e32 v3, v3
	v_nop
	v_mul_f32_e32 v3, 0x4f7ffffe, v3
	s_delay_alu instid0(VALU_DEP_1) | instskip(NEXT) | instid1(VALU_DEP_1)
	v_cvt_u32_f32_e32 v3, v3
	v_mul_lo_u32 v7, s1, v3
	s_delay_alu instid0(VALU_DEP_1) | instskip(NEXT) | instid1(VALU_DEP_1)
	v_mul_hi_u32 v7, v3, v7
	v_add_nc_u32_e32 v3, v3, v7
	s_delay_alu instid0(VALU_DEP_1) | instskip(NEXT) | instid1(VALU_DEP_1)
	v_mul_hi_u32 v3, v12, v3
	v_mul_lo_u32 v3, v3, s8
	s_delay_alu instid0(VALU_DEP_1) | instskip(NEXT) | instid1(VALU_DEP_1)
	v_sub_nc_u32_e32 v3, v12, v3
	v_subrev_nc_u32_e32 v7, s8, v3
	v_cmp_le_u32_e32 vcc_lo, s8, v3
	s_delay_alu instid0(VALU_DEP_2) | instskip(NEXT) | instid1(VALU_DEP_1)
	v_cndmask_b32_e32 v3, v3, v7, vcc_lo
	v_subrev_nc_u32_e32 v7, s8, v3
	v_cmp_le_u32_e32 vcc_lo, s8, v3
	s_delay_alu instid0(VALU_DEP_2)
	v_cndmask_b32_e32 v8, v3, v7, vcc_lo
.LBB11_12:                              ;   in Loop: Header=BB11_4 Depth=1
	s_or_b32 exec_lo, exec_lo, s0
	v_or_b32_e32 v3, s29, v5
                                        ; implicit-def: $vgpr10_vgpr11
	s_mov_b32 s0, exec_lo
	s_delay_alu instid0(VALU_DEP_1)
	v_cmpx_ne_u64_e32 0, v[2:3]
	s_xor_b32 s1, exec_lo, s0
	s_cbranch_execz .LBB11_14
; %bb.13:                               ;   in Loop: Header=BB11_4 Depth=1
	s_ashr_i32 s54, s29, 31
	v_dual_mov_b32 v7, v6 :: v_dual_mov_b32 v15, v2
	s_mov_b32 s55, s54
	v_mov_b32_e32 v23, v2
	s_add_nc_u64 s[56:57], s[28:29], s[54:55]
	s_delay_alu instid0(VALU_DEP_2)
	v_add_nc_u64_e32 v[10:11], v[4:5], v[6:7]
	s_xor_b64 s[56:57], s[56:57], s[54:55]
	v_mov_b32_e32 v19, v2
	s_cvt_f32_u32 s0, s56
	s_cvt_f32_u32 s2, s57
	s_sub_nc_u64 s[60:61], 0, s[56:57]
	s_delay_alu instid0(VALU_DEP_2) | instskip(NEXT) | instid1(SALU_CYCLE_1)
	v_xor_b32_e32 v14, v10, v6
	s_fmamk_f32 s0, s2, 0x4f800000, s0
	v_xor_b32_e32 v18, v11, v6
	v_xor_b32_e32 v6, s54, v6
	s_delay_alu instid0(SALU_CYCLE_1) | instskip(NEXT) | instid1(TRANS32_DEP_1)
	v_s_rcp_f32 s0, s0
	s_mul_f32 s0, s0, 0x5f7ffffc
	s_delay_alu instid0(SALU_CYCLE_3) | instskip(NEXT) | instid1(SALU_CYCLE_3)
	s_mul_f32 s2, s0, 0x2f800000
	s_trunc_f32 s2, s2
	s_delay_alu instid0(SALU_CYCLE_3) | instskip(SKIP_1) | instid1(SALU_CYCLE_2)
	s_fmamk_f32 s0, s2, 0xcf800000, s0
	s_cvt_u32_f32 s59, s2
	s_cvt_u32_f32 s58, s0
	s_delay_alu instid0(SALU_CYCLE_3) | instskip(NEXT) | instid1(SALU_CYCLE_1)
	s_mul_u64 s[62:63], s[60:61], s[58:59]
	s_mul_hi_u32 s65, s58, s63
	s_mul_i32 s64, s58, s63
	s_mul_hi_u32 s2, s58, s62
	s_mul_i32 s43, s59, s62
	s_add_nc_u64 s[64:65], s[2:3], s[64:65]
	s_mul_hi_u32 s0, s59, s62
	s_mul_hi_u32 s55, s59, s63
	s_add_co_u32 s2, s64, s43
	s_add_co_ci_u32 s2, s65, s0
	s_mul_i32 s62, s59, s63
	s_add_co_ci_u32 s63, s55, 0
	s_delay_alu instid0(SALU_CYCLE_1) | instskip(NEXT) | instid1(SALU_CYCLE_1)
	s_add_nc_u64 s[62:63], s[2:3], s[62:63]
	s_add_co_u32 s58, s58, s62
	s_cselect_b32 s0, -1, 0
	s_delay_alu instid0(SALU_CYCLE_1) | instskip(SKIP_1) | instid1(SALU_CYCLE_1)
	s_cmp_lg_u32 s0, 0
	s_add_co_ci_u32 s59, s59, s63
	s_mul_u64 s[60:61], s[60:61], s[58:59]
	s_delay_alu instid0(SALU_CYCLE_1)
	s_mul_hi_u32 s63, s58, s61
	s_mul_i32 s62, s58, s61
	s_mul_hi_u32 s2, s58, s60
	s_mul_i32 s43, s59, s60
	s_add_nc_u64 s[62:63], s[2:3], s[62:63]
	s_mul_hi_u32 s0, s59, s60
	s_mul_hi_u32 s55, s59, s61
	s_add_co_u32 s2, s62, s43
	s_add_co_ci_u32 s2, s63, s0
	s_mul_i32 s60, s59, s61
	s_add_co_ci_u32 s61, s55, 0
	s_delay_alu instid0(SALU_CYCLE_1) | instskip(NEXT) | instid1(SALU_CYCLE_1)
	s_add_nc_u64 s[60:61], s[2:3], s[60:61]
	s_add_co_u32 s0, s58, s60
	s_cselect_b32 s2, -1, 0
	v_nop
	v_mul_hi_u32 v22, v14, s0
	s_cmp_lg_u32 s2, 0
	s_add_co_ci_u32 s2, s59, s61
	s_and_b64 s[58:59], s[0:1], s[34:35]
	v_mul_u64_e32 v[16:17], s[2:3], v[14:15]
	v_mul_u64_e32 v[10:11], s[58:59], v[18:19]
	;; [unrolled: 1-line block ×3, first 2 shown]
	s_delay_alu instid0(VALU_DEP_3) | instskip(NEXT) | instid1(VALU_DEP_1)
	v_add_nc_u64_e32 v[16:17], v[22:23], v[16:17]
	v_add_co_u32 v3, vcc_lo, v16, v10
	s_delay_alu instid0(VALU_DEP_2) | instskip(NEXT) | instid1(VALU_DEP_4)
	v_add_co_ci_u32_e32 v22, vcc_lo, v17, v11, vcc_lo
	v_add_co_ci_u32_e32 v21, vcc_lo, 0, v21, vcc_lo
	s_delay_alu instid0(VALU_DEP_1) | instskip(NEXT) | instid1(VALU_DEP_1)
	v_add_nc_u64_e32 v[10:11], v[22:23], v[20:21]
	v_mul_u64_e32 v[16:17], s[56:57], v[10:11]
	s_delay_alu instid0(VALU_DEP_1) | instskip(NEXT) | instid1(VALU_DEP_2)
	v_sub_nc_u32_e32 v3, v18, v17
	v_sub_co_u32 v7, vcc_lo, v14, v16
	s_delay_alu instid0(VALU_DEP_1) | instskip(NEXT) | instid1(VALU_DEP_3)
	v_sub_co_ci_u32_e64 v18, null, v18, v17, vcc_lo
	v_subrev_co_ci_u32_e64 v3, null, s57, v3, vcc_lo
	s_delay_alu instid0(VALU_DEP_3) | instskip(SKIP_1) | instid1(VALU_DEP_3)
	v_sub_co_u32 v14, s0, v7, s56
	v_add_nc_u64_e32 v[16:17], 1, v[10:11]
	v_subrev_co_ci_u32_e64 v3, null, 0, v3, s0
	s_delay_alu instid0(VALU_DEP_3) | instskip(SKIP_1) | instid1(VALU_DEP_3)
	v_cmp_le_u32_e32 vcc_lo, s56, v14
	v_cndmask_b32_e64 v14, 0, -1, vcc_lo
	v_cmp_le_u32_e32 vcc_lo, s57, v3
	v_cndmask_b32_e64 v15, 0, -1, vcc_lo
	;; [unrolled: 2-line block ×4, first 2 shown]
	v_cmp_eq_u32_e32 vcc_lo, s57, v3
	v_cndmask_b32_e32 v3, v15, v14, vcc_lo
	v_cmp_eq_u32_e32 vcc_lo, s57, v18
	v_add_nc_u64_e32 v[14:15], 2, v[10:11]
	v_cndmask_b32_e32 v7, v19, v7, vcc_lo
	s_delay_alu instid0(VALU_DEP_4) | instskip(NEXT) | instid1(VALU_DEP_2)
	v_cmp_ne_u32_e32 vcc_lo, 0, v3
	v_cmp_ne_u32_e64 s0, 0, v7
	s_delay_alu instid0(VALU_DEP_4) | instskip(NEXT) | instid1(VALU_DEP_1)
	v_dual_cndmask_b32 v3, v17, v15, vcc_lo :: v_dual_cndmask_b32 v7, v16, v14, vcc_lo
	v_cndmask_b32_e64 v3, v11, v3, s0
	s_delay_alu instid0(VALU_DEP_2) | instskip(NEXT) | instid1(VALU_DEP_2)
	v_cndmask_b32_e64 v10, v10, v7, s0
	v_dual_mov_b32 v7, v6 :: v_dual_bitop2_b32 v11, v3, v6 bitop3:0x14
	s_delay_alu instid0(VALU_DEP_2) | instskip(NEXT) | instid1(VALU_DEP_1)
	v_xor_b32_e32 v10, v10, v6
	v_sub_nc_u64_e32 v[10:11], v[10:11], v[6:7]
.LBB11_14:                              ;   in Loop: Header=BB11_4 Depth=1
	s_and_not1_saveexec_b32 s0, s1
	s_cbranch_execz .LBB11_16
; %bb.15:                               ;   in Loop: Header=BB11_4 Depth=1
	v_cvt_f32_u32_e32 v3, s28
	s_sub_co_i32 s1, 0, s28
	v_mov_b32_e32 v11, v2
	s_delay_alu instid0(VALU_DEP_2) | instskip(SKIP_1) | instid1(TRANS32_DEP_1)
	v_rcp_iflag_f32_e32 v3, v3
	v_nop
	v_mul_f32_e32 v3, 0x4f7ffffe, v3
	s_delay_alu instid0(VALU_DEP_1) | instskip(NEXT) | instid1(VALU_DEP_1)
	v_cvt_u32_f32_e32 v3, v3
	v_mul_lo_u32 v6, s1, v3
	s_delay_alu instid0(VALU_DEP_1) | instskip(NEXT) | instid1(VALU_DEP_1)
	v_mul_hi_u32 v6, v3, v6
	v_add_nc_u32_e32 v3, v3, v6
	s_delay_alu instid0(VALU_DEP_1) | instskip(NEXT) | instid1(VALU_DEP_1)
	v_mul_hi_u32 v3, v0, v3
	v_mul_lo_u32 v6, v3, s28
	s_delay_alu instid0(VALU_DEP_1) | instskip(NEXT) | instid1(VALU_DEP_1)
	v_sub_nc_u32_e32 v6, v0, v6
	v_subrev_nc_u32_e32 v10, s28, v6
	v_cmp_le_u32_e32 vcc_lo, s28, v6
	s_delay_alu instid0(VALU_DEP_2) | instskip(NEXT) | instid1(VALU_DEP_1)
	v_dual_cndmask_b32 v6, v6, v10 :: v_dual_add_nc_u32 v7, 1, v3
	v_cndmask_b32_e32 v3, v3, v7, vcc_lo
	s_delay_alu instid0(VALU_DEP_2) | instskip(NEXT) | instid1(VALU_DEP_2)
	v_cmp_le_u32_e32 vcc_lo, s28, v6
	v_add_nc_u32_e32 v7, 1, v3
	s_delay_alu instid0(VALU_DEP_1)
	v_cndmask_b32_e32 v10, v3, v7, vcc_lo
.LBB11_16:                              ;   in Loop: Header=BB11_4 Depth=1
	s_or_b32 exec_lo, exec_lo, s0
	v_mul_u64_e32 v[12:13], s[10:11], v[12:13]
	s_mov_b32 s1, exec_lo
	s_delay_alu instid0(VALU_DEP_1) | instskip(NEXT) | instid1(VALU_DEP_1)
	v_sub_nc_u64_e32 v[6:7], v[4:5], v[12:13]
	v_add_nc_u64_e32 v[14:15], s[18:19], v[6:7]
	v_mov_b64_e32 v[6:7], 0
	s_delay_alu instid0(VALU_DEP_2)
	v_cmpx_lt_i64_e64 s[44:45], v[14:15]
	s_cbranch_execz .LBB11_22
; %bb.17:                               ;   in Loop: Header=BB11_4 Depth=1
	v_add_nc_u64_e32 v[6:7], s[52:53], v[14:15]
                                        ; implicit-def: $vgpr16_vgpr17
	s_mov_b32 s0, exec_lo
	s_delay_alu instid0(VALU_DEP_1) | instskip(NEXT) | instid1(VALU_DEP_1)
	v_or_b32_e32 v3, s23, v7
	v_cmpx_ne_u64_e32 0, v[2:3]
	s_xor_b32 s43, exec_lo, s0
	s_cbranch_execz .LBB11_19
; %bb.18:                               ;   in Loop: Header=BB11_4 Depth=1
	s_ashr_i32 s54, s23, 31
	v_dual_mov_b32 v19, v2 :: v_dual_ashrrev_i32 v16, 31, v7
	s_mov_b32 s55, s54
	v_mov_b32_e32 v27, v2
	s_add_nc_u64 s[56:57], s[22:23], s[54:55]
	s_delay_alu instid0(VALU_DEP_2) | instskip(SKIP_1) | instid1(SALU_CYCLE_1)
	v_mov_b32_e32 v17, v16
	s_xor_b64 s[56:57], s[56:57], s[54:55]
	s_cvt_f32_u32 s0, s56
	s_cvt_f32_u32 s2, s57
	s_sub_nc_u64 s[60:61], 0, s[56:57]
	v_add_nc_u64_e32 v[6:7], v[6:7], v[16:17]
	v_mov_b32_e32 v23, v2
	s_fmamk_f32 s0, s2, 0x4f800000, s0
	s_delay_alu instid0(SALU_CYCLE_3) | instskip(NEXT) | instid1(VALU_DEP_2)
	v_s_rcp_f32 s0, s0
	v_xor_b32_e32 v18, v6, v16
	s_delay_alu instid0(VALU_DEP_3) | instskip(NEXT) | instid1(TRANS32_DEP_1)
	v_xor_b32_e32 v22, v7, v16
	s_mul_f32 s0, s0, 0x5f7ffffc
	s_delay_alu instid0(SALU_CYCLE_3) | instskip(NEXT) | instid1(SALU_CYCLE_3)
	s_mul_f32 s2, s0, 0x2f800000
	s_trunc_f32 s2, s2
	s_delay_alu instid0(SALU_CYCLE_3) | instskip(SKIP_1) | instid1(SALU_CYCLE_2)
	s_fmamk_f32 s0, s2, 0xcf800000, s0
	s_cvt_u32_f32 s59, s2
	s_cvt_u32_f32 s58, s0
	s_delay_alu instid0(SALU_CYCLE_3) | instskip(NEXT) | instid1(SALU_CYCLE_1)
	s_mul_u64 s[62:63], s[60:61], s[58:59]
	s_mul_hi_u32 s65, s58, s63
	s_mul_i32 s64, s58, s63
	s_mul_hi_u32 s2, s58, s62
	s_mul_i32 s55, s59, s62
	s_add_nc_u64 s[64:65], s[2:3], s[64:65]
	s_mul_hi_u32 s0, s59, s62
	s_mul_hi_u32 s66, s59, s63
	s_add_co_u32 s2, s64, s55
	s_add_co_ci_u32 s2, s65, s0
	s_mul_i32 s62, s59, s63
	s_add_co_ci_u32 s63, s66, 0
	s_delay_alu instid0(SALU_CYCLE_1) | instskip(NEXT) | instid1(SALU_CYCLE_1)
	s_add_nc_u64 s[62:63], s[2:3], s[62:63]
	s_add_co_u32 s58, s58, s62
	s_cselect_b32 s0, -1, 0
	s_delay_alu instid0(SALU_CYCLE_1) | instskip(SKIP_1) | instid1(SALU_CYCLE_1)
	s_cmp_lg_u32 s0, 0
	s_add_co_ci_u32 s59, s59, s63
	s_mul_u64 s[60:61], s[60:61], s[58:59]
	s_delay_alu instid0(SALU_CYCLE_1)
	s_mul_hi_u32 s63, s58, s61
	s_mul_i32 s62, s58, s61
	s_mul_hi_u32 s2, s58, s60
	s_mul_i32 s55, s59, s60
	s_add_nc_u64 s[62:63], s[2:3], s[62:63]
	s_mul_hi_u32 s0, s59, s60
	s_mul_hi_u32 s64, s59, s61
	s_add_co_u32 s2, s62, s55
	s_add_co_ci_u32 s2, s63, s0
	s_mul_i32 s60, s59, s61
	s_add_co_ci_u32 s61, s64, 0
	s_delay_alu instid0(SALU_CYCLE_1) | instskip(NEXT) | instid1(SALU_CYCLE_1)
	s_add_nc_u64 s[60:61], s[2:3], s[60:61]
	s_add_co_u32 s0, s58, s60
	s_cselect_b32 s2, -1, 0
	v_mul_hi_u32 v26, v18, s0
	s_cmp_lg_u32 s2, 0
	s_add_co_ci_u32 s2, s59, s61
	s_and_b64 s[58:59], s[0:1], s[34:35]
	v_mul_u64_e32 v[20:21], s[2:3], v[18:19]
	v_mul_u64_e32 v[6:7], s[58:59], v[22:23]
	;; [unrolled: 1-line block ×3, first 2 shown]
	s_delay_alu instid0(VALU_DEP_3) | instskip(NEXT) | instid1(VALU_DEP_1)
	v_add_nc_u64_e32 v[20:21], v[26:27], v[20:21]
	v_add_co_u32 v3, vcc_lo, v20, v6
	s_delay_alu instid0(VALU_DEP_2) | instskip(NEXT) | instid1(VALU_DEP_4)
	v_add_co_ci_u32_e32 v26, vcc_lo, v21, v7, vcc_lo
	v_add_co_ci_u32_e32 v25, vcc_lo, 0, v25, vcc_lo
	s_delay_alu instid0(VALU_DEP_1) | instskip(NEXT) | instid1(VALU_DEP_1)
	v_add_nc_u64_e32 v[6:7], v[26:27], v[24:25]
	v_mul_u64_e32 v[20:21], s[56:57], v[6:7]
	s_delay_alu instid0(VALU_DEP_1) | instskip(NEXT) | instid1(VALU_DEP_2)
	v_sub_nc_u32_e32 v3, v22, v21
	v_sub_co_u32 v17, vcc_lo, v18, v20
	s_delay_alu instid0(VALU_DEP_1) | instskip(NEXT) | instid1(VALU_DEP_3)
	v_sub_co_ci_u32_e64 v22, null, v22, v21, vcc_lo
	v_subrev_co_ci_u32_e64 v3, null, s57, v3, vcc_lo
	s_delay_alu instid0(VALU_DEP_3) | instskip(SKIP_1) | instid1(VALU_DEP_3)
	v_sub_co_u32 v18, s0, v17, s56
	v_add_nc_u64_e32 v[20:21], 1, v[6:7]
	v_subrev_co_ci_u32_e64 v3, null, 0, v3, s0
	s_delay_alu instid0(VALU_DEP_3) | instskip(SKIP_1) | instid1(VALU_DEP_3)
	v_cmp_le_u32_e32 vcc_lo, s56, v18
	v_cndmask_b32_e64 v18, 0, -1, vcc_lo
	v_cmp_le_u32_e32 vcc_lo, s57, v3
	v_cndmask_b32_e64 v19, 0, -1, vcc_lo
	;; [unrolled: 2-line block ×4, first 2 shown]
	v_cmp_eq_u32_e32 vcc_lo, s57, v3
	v_cndmask_b32_e32 v3, v19, v18, vcc_lo
	v_cmp_eq_u32_e32 vcc_lo, s57, v22
	v_add_nc_u64_e32 v[18:19], 2, v[6:7]
	v_cndmask_b32_e32 v17, v23, v17, vcc_lo
	s_delay_alu instid0(VALU_DEP_4) | instskip(NEXT) | instid1(VALU_DEP_3)
	v_cmp_ne_u32_e32 vcc_lo, 0, v3
	v_cndmask_b32_e32 v3, v21, v19, vcc_lo
	s_delay_alu instid0(VALU_DEP_3) | instskip(SKIP_1) | instid1(VALU_DEP_1)
	v_cmp_ne_u32_e64 s0, 0, v17
	v_dual_cndmask_b32 v17, v20, v18, vcc_lo :: v_dual_bitop2_b32 v16, s54, v16 bitop3:0x14
	v_dual_cndmask_b32 v3, v7, v3, s0 :: v_dual_cndmask_b32 v6, v6, v17, s0
	s_delay_alu instid0(VALU_DEP_1) | instskip(NEXT) | instid1(VALU_DEP_2)
	v_dual_mov_b32 v17, v16 :: v_dual_bitop2_b32 v7, v3, v16 bitop3:0x14
	v_xor_b32_e32 v6, v6, v16
	s_delay_alu instid0(VALU_DEP_1)
	v_sub_nc_u64_e32 v[16:17], v[6:7], v[16:17]
                                        ; implicit-def: $vgpr6_vgpr7
.LBB11_19:                              ;   in Loop: Header=BB11_4 Depth=1
	s_and_not1_saveexec_b32 s0, s43
	s_cbranch_execz .LBB11_21
; %bb.20:                               ;   in Loop: Header=BB11_4 Depth=1
	v_cvt_f32_u32_e32 v3, s22
	s_sub_co_i32 s2, 0, s22
	v_mov_b32_e32 v17, v2
	s_delay_alu instid0(VALU_DEP_2) | instskip(SKIP_1) | instid1(TRANS32_DEP_1)
	v_rcp_iflag_f32_e32 v3, v3
	v_nop
	v_mul_f32_e32 v3, 0x4f7ffffe, v3
	s_delay_alu instid0(VALU_DEP_1) | instskip(NEXT) | instid1(VALU_DEP_1)
	v_cvt_u32_f32_e32 v3, v3
	v_mul_lo_u32 v7, s2, v3
	s_delay_alu instid0(VALU_DEP_1) | instskip(NEXT) | instid1(VALU_DEP_1)
	v_mul_hi_u32 v7, v3, v7
	v_add_nc_u32_e32 v3, v3, v7
	s_delay_alu instid0(VALU_DEP_1) | instskip(NEXT) | instid1(VALU_DEP_1)
	v_mul_hi_u32 v3, v6, v3
	v_mul_lo_u32 v7, v3, s22
	s_delay_alu instid0(VALU_DEP_1) | instskip(SKIP_1) | instid1(VALU_DEP_2)
	v_sub_nc_u32_e32 v6, v6, v7
	v_add_nc_u32_e32 v7, 1, v3
	v_subrev_nc_u32_e32 v16, s22, v6
	v_cmp_le_u32_e32 vcc_lo, s22, v6
	s_delay_alu instid0(VALU_DEP_2) | instskip(NEXT) | instid1(VALU_DEP_1)
	v_dual_cndmask_b32 v6, v6, v16 :: v_dual_cndmask_b32 v3, v3, v7
	v_cmp_le_u32_e32 vcc_lo, s22, v6
	s_delay_alu instid0(VALU_DEP_2) | instskip(NEXT) | instid1(VALU_DEP_1)
	v_add_nc_u32_e32 v7, 1, v3
	v_cndmask_b32_e32 v16, v3, v7, vcc_lo
.LBB11_21:                              ;   in Loop: Header=BB11_4 Depth=1
	s_or_b32 exec_lo, exec_lo, s0
	s_delay_alu instid0(VALU_DEP_1)
	v_add_nc_u64_e32 v[6:7], 1, v[16:17]
.LBB11_22:                              ;   in Loop: Header=BB11_4 Depth=1
	s_or_b32 exec_lo, exec_lo, s1
	v_or_b32_e32 v3, s23, v15
                                        ; implicit-def: $vgpr18_vgpr19
	s_mov_b32 s0, exec_lo
	s_delay_alu instid0(VALU_DEP_1)
	v_cmpx_ne_u64_e32 0, v[2:3]
	s_xor_b32 s1, exec_lo, s0
	s_cbranch_execz .LBB11_24
; %bb.23:                               ;   in Loop: Header=BB11_4 Depth=1
	s_ashr_i32 s54, s23, 31
	v_dual_mov_b32 v19, v2 :: v_dual_ashrrev_i32 v16, 31, v15
	s_mov_b32 s55, s54
	v_mov_b32_e32 v27, v2
	s_add_nc_u64 s[56:57], s[22:23], s[54:55]
	s_delay_alu instid0(VALU_DEP_2) | instskip(SKIP_1) | instid1(SALU_CYCLE_1)
	v_mov_b32_e32 v17, v16
	s_xor_b64 s[56:57], s[56:57], s[54:55]
	s_cvt_f32_u32 s0, s56
	s_cvt_f32_u32 s2, s57
	s_sub_nc_u64 s[60:61], 0, s[56:57]
	v_add_nc_u64_e32 v[14:15], v[14:15], v[16:17]
	v_mov_b32_e32 v23, v2
	s_fmamk_f32 s0, s2, 0x4f800000, s0
	s_delay_alu instid0(SALU_CYCLE_3) | instskip(NEXT) | instid1(VALU_DEP_2)
	v_s_rcp_f32 s0, s0
	v_xor_b32_e32 v18, v14, v16
	s_delay_alu instid0(VALU_DEP_3) | instskip(NEXT) | instid1(TRANS32_DEP_1)
	v_xor_b32_e32 v22, v15, v16
	s_mul_f32 s0, s0, 0x5f7ffffc
	s_delay_alu instid0(SALU_CYCLE_3) | instskip(NEXT) | instid1(SALU_CYCLE_3)
	s_mul_f32 s2, s0, 0x2f800000
	s_trunc_f32 s2, s2
	s_delay_alu instid0(SALU_CYCLE_3) | instskip(SKIP_1) | instid1(SALU_CYCLE_2)
	s_fmamk_f32 s0, s2, 0xcf800000, s0
	s_cvt_u32_f32 s59, s2
	s_cvt_u32_f32 s58, s0
	s_delay_alu instid0(SALU_CYCLE_3) | instskip(NEXT) | instid1(SALU_CYCLE_1)
	s_mul_u64 s[62:63], s[60:61], s[58:59]
	s_mul_hi_u32 s65, s58, s63
	s_mul_i32 s64, s58, s63
	s_mul_hi_u32 s2, s58, s62
	s_mul_i32 s43, s59, s62
	s_add_nc_u64 s[64:65], s[2:3], s[64:65]
	s_mul_hi_u32 s0, s59, s62
	s_mul_hi_u32 s55, s59, s63
	s_add_co_u32 s2, s64, s43
	s_add_co_ci_u32 s2, s65, s0
	s_mul_i32 s62, s59, s63
	s_add_co_ci_u32 s63, s55, 0
	s_delay_alu instid0(SALU_CYCLE_1) | instskip(NEXT) | instid1(SALU_CYCLE_1)
	s_add_nc_u64 s[62:63], s[2:3], s[62:63]
	s_add_co_u32 s58, s58, s62
	s_cselect_b32 s0, -1, 0
	s_delay_alu instid0(SALU_CYCLE_1) | instskip(SKIP_1) | instid1(SALU_CYCLE_1)
	s_cmp_lg_u32 s0, 0
	s_add_co_ci_u32 s59, s59, s63
	s_mul_u64 s[60:61], s[60:61], s[58:59]
	s_delay_alu instid0(SALU_CYCLE_1)
	s_mul_hi_u32 s63, s58, s61
	s_mul_i32 s62, s58, s61
	s_mul_hi_u32 s2, s58, s60
	s_mul_i32 s43, s59, s60
	s_add_nc_u64 s[62:63], s[2:3], s[62:63]
	s_mul_hi_u32 s0, s59, s60
	s_mul_hi_u32 s55, s59, s61
	s_add_co_u32 s2, s62, s43
	s_add_co_ci_u32 s2, s63, s0
	s_mul_i32 s60, s59, s61
	s_add_co_ci_u32 s61, s55, 0
	s_delay_alu instid0(SALU_CYCLE_1) | instskip(NEXT) | instid1(SALU_CYCLE_1)
	s_add_nc_u64 s[60:61], s[2:3], s[60:61]
	s_add_co_u32 s0, s58, s60
	s_cselect_b32 s2, -1, 0
	v_mul_hi_u32 v26, v18, s0
	s_cmp_lg_u32 s2, 0
	s_add_co_ci_u32 s2, s59, s61
	s_and_b64 s[58:59], s[0:1], s[34:35]
	v_mul_u64_e32 v[20:21], s[2:3], v[18:19]
	v_mul_u64_e32 v[14:15], s[58:59], v[22:23]
	;; [unrolled: 1-line block ×3, first 2 shown]
	s_delay_alu instid0(VALU_DEP_3) | instskip(NEXT) | instid1(VALU_DEP_1)
	v_add_nc_u64_e32 v[20:21], v[26:27], v[20:21]
	v_add_co_u32 v3, vcc_lo, v20, v14
	s_delay_alu instid0(VALU_DEP_2) | instskip(NEXT) | instid1(VALU_DEP_4)
	v_add_co_ci_u32_e32 v26, vcc_lo, v21, v15, vcc_lo
	v_add_co_ci_u32_e32 v25, vcc_lo, 0, v25, vcc_lo
	s_delay_alu instid0(VALU_DEP_1) | instskip(NEXT) | instid1(VALU_DEP_1)
	v_add_nc_u64_e32 v[14:15], v[26:27], v[24:25]
	v_mul_u64_e32 v[20:21], s[56:57], v[14:15]
	s_delay_alu instid0(VALU_DEP_1) | instskip(NEXT) | instid1(VALU_DEP_2)
	v_sub_nc_u32_e32 v3, v22, v21
	v_sub_co_u32 v17, vcc_lo, v18, v20
	s_delay_alu instid0(VALU_DEP_1) | instskip(NEXT) | instid1(VALU_DEP_3)
	v_sub_co_ci_u32_e64 v22, null, v22, v21, vcc_lo
	v_subrev_co_ci_u32_e64 v3, null, s57, v3, vcc_lo
	s_delay_alu instid0(VALU_DEP_3) | instskip(SKIP_1) | instid1(VALU_DEP_3)
	v_sub_co_u32 v18, s0, v17, s56
	v_add_nc_u64_e32 v[20:21], 1, v[14:15]
	v_subrev_co_ci_u32_e64 v3, null, 0, v3, s0
	s_delay_alu instid0(VALU_DEP_3) | instskip(SKIP_1) | instid1(VALU_DEP_3)
	v_cmp_le_u32_e32 vcc_lo, s56, v18
	v_cndmask_b32_e64 v18, 0, -1, vcc_lo
	v_cmp_le_u32_e32 vcc_lo, s57, v3
	v_cndmask_b32_e64 v19, 0, -1, vcc_lo
	;; [unrolled: 2-line block ×4, first 2 shown]
	v_cmp_eq_u32_e32 vcc_lo, s57, v3
	v_cndmask_b32_e32 v3, v19, v18, vcc_lo
	v_cmp_eq_u32_e32 vcc_lo, s57, v22
	v_add_nc_u64_e32 v[18:19], 2, v[14:15]
	v_cndmask_b32_e32 v17, v23, v17, vcc_lo
	s_delay_alu instid0(VALU_DEP_4) | instskip(NEXT) | instid1(VALU_DEP_3)
	v_cmp_ne_u32_e32 vcc_lo, 0, v3
	v_cndmask_b32_e32 v3, v21, v19, vcc_lo
	s_delay_alu instid0(VALU_DEP_3) | instskip(SKIP_1) | instid1(VALU_DEP_1)
	v_cmp_ne_u32_e64 s0, 0, v17
	v_dual_cndmask_b32 v17, v20, v18, vcc_lo :: v_dual_bitop2_b32 v16, s54, v16 bitop3:0x14
	v_dual_cndmask_b32 v3, v15, v3, s0 :: v_dual_cndmask_b32 v14, v14, v17, s0
	s_delay_alu instid0(VALU_DEP_1) | instskip(NEXT) | instid1(VALU_DEP_2)
	v_dual_mov_b32 v17, v16 :: v_dual_bitop2_b32 v15, v3, v16 bitop3:0x14
	v_xor_b32_e32 v14, v14, v16
	s_delay_alu instid0(VALU_DEP_1)
	v_sub_nc_u64_e32 v[18:19], v[14:15], v[16:17]
                                        ; implicit-def: $vgpr14_vgpr15
.LBB11_24:                              ;   in Loop: Header=BB11_4 Depth=1
	s_and_not1_saveexec_b32 s0, s1
	s_cbranch_execz .LBB11_26
; %bb.25:                               ;   in Loop: Header=BB11_4 Depth=1
	v_cvt_f32_u32_e32 v3, s22
	s_sub_co_i32 s1, 0, s22
	v_mov_b32_e32 v19, v2
	s_delay_alu instid0(VALU_DEP_2) | instskip(SKIP_1) | instid1(TRANS32_DEP_1)
	v_rcp_iflag_f32_e32 v3, v3
	v_nop
	v_mul_f32_e32 v3, 0x4f7ffffe, v3
	s_delay_alu instid0(VALU_DEP_1) | instskip(NEXT) | instid1(VALU_DEP_1)
	v_cvt_u32_f32_e32 v3, v3
	v_mul_lo_u32 v15, s1, v3
	s_delay_alu instid0(VALU_DEP_1) | instskip(NEXT) | instid1(VALU_DEP_1)
	v_mul_hi_u32 v15, v3, v15
	v_add_nc_u32_e32 v3, v3, v15
	s_delay_alu instid0(VALU_DEP_1) | instskip(NEXT) | instid1(VALU_DEP_1)
	v_mul_hi_u32 v3, v14, v3
	v_mul_lo_u32 v15, v3, s22
	s_delay_alu instid0(VALU_DEP_1) | instskip(SKIP_1) | instid1(VALU_DEP_2)
	v_sub_nc_u32_e32 v14, v14, v15
	v_add_nc_u32_e32 v15, 1, v3
	v_subrev_nc_u32_e32 v16, s22, v14
	v_cmp_le_u32_e32 vcc_lo, s22, v14
	s_delay_alu instid0(VALU_DEP_2) | instskip(NEXT) | instid1(VALU_DEP_1)
	v_dual_cndmask_b32 v14, v14, v16 :: v_dual_cndmask_b32 v3, v3, v15
	v_cmp_le_u32_e32 vcc_lo, s22, v14
	s_delay_alu instid0(VALU_DEP_2) | instskip(NEXT) | instid1(VALU_DEP_1)
	v_add_nc_u32_e32 v15, 1, v3
	v_cndmask_b32_e32 v18, v3, v15, vcc_lo
.LBB11_26:                              ;   in Loop: Header=BB11_4 Depth=1
	s_or_b32 exec_lo, exec_lo, s0
	v_add_nc_u64_e32 v[8:9], s[16:17], v[8:9]
	v_mov_b64_e32 v[14:15], 0
	s_mov_b32 s1, exec_lo
	s_delay_alu instid0(VALU_DEP_2)
	v_cmpx_lt_i64_e64 s[46:47], v[8:9]
	s_cbranch_execz .LBB11_32
; %bb.27:                               ;   in Loop: Header=BB11_4 Depth=1
	v_add_nc_u64_e32 v[14:15], s[50:51], v[8:9]
                                        ; implicit-def: $vgpr16_vgpr17
	s_mov_b32 s0, exec_lo
	s_delay_alu instid0(VALU_DEP_1) | instskip(NEXT) | instid1(VALU_DEP_1)
	v_or_b32_e32 v3, s21, v15
	v_cmpx_ne_u64_e32 0, v[2:3]
	s_xor_b32 s43, exec_lo, s0
	s_cbranch_execz .LBB11_29
; %bb.28:                               ;   in Loop: Header=BB11_4 Depth=1
	s_ashr_i32 s54, s21, 31
	v_dual_mov_b32 v21, v2 :: v_dual_ashrrev_i32 v16, 31, v15
	s_mov_b32 s55, s54
	s_delay_alu instid0(SALU_CYCLE_1) | instskip(NEXT) | instid1(VALU_DEP_1)
	s_add_nc_u64 s[56:57], s[20:21], s[54:55]
	v_mov_b32_e32 v17, v16
	s_xor_b64 s[56:57], s[56:57], s[54:55]
	s_delay_alu instid0(SALU_CYCLE_1)
	s_cvt_f32_u32 s0, s56
	s_cvt_f32_u32 s2, s57
	s_sub_nc_u64 s[60:61], 0, s[56:57]
	v_add_nc_u64_e32 v[14:15], v[14:15], v[16:17]
	v_mov_b32_e32 v25, v2
	s_fmamk_f32 s0, s2, 0x4f800000, s0
	s_delay_alu instid0(SALU_CYCLE_3) | instskip(NEXT) | instid1(VALU_DEP_2)
	v_s_rcp_f32 s0, s0
	v_xor_b32_e32 v20, v14, v16
	s_delay_alu instid0(VALU_DEP_3) | instskip(SKIP_1) | instid1(TRANS32_DEP_1)
	v_dual_mov_b32 v29, v2 :: v_dual_bitop2_b32 v24, v15, v16 bitop3:0x14
	v_xor_b32_e32 v16, s54, v16
	s_mul_f32 s0, s0, 0x5f7ffffc
	s_delay_alu instid0(SALU_CYCLE_3) | instskip(NEXT) | instid1(SALU_CYCLE_3)
	s_mul_f32 s2, s0, 0x2f800000
	s_trunc_f32 s2, s2
	s_delay_alu instid0(SALU_CYCLE_3) | instskip(SKIP_1) | instid1(SALU_CYCLE_2)
	s_fmamk_f32 s0, s2, 0xcf800000, s0
	s_cvt_u32_f32 s59, s2
	s_cvt_u32_f32 s58, s0
	s_delay_alu instid0(SALU_CYCLE_3) | instskip(NEXT) | instid1(SALU_CYCLE_1)
	s_mul_u64 s[62:63], s[60:61], s[58:59]
	s_mul_hi_u32 s65, s58, s63
	s_mul_i32 s64, s58, s63
	s_mul_hi_u32 s2, s58, s62
	s_mul_i32 s55, s59, s62
	s_add_nc_u64 s[64:65], s[2:3], s[64:65]
	s_mul_hi_u32 s0, s59, s62
	s_mul_hi_u32 s66, s59, s63
	s_add_co_u32 s2, s64, s55
	s_add_co_ci_u32 s2, s65, s0
	s_mul_i32 s62, s59, s63
	s_add_co_ci_u32 s63, s66, 0
	s_delay_alu instid0(SALU_CYCLE_1) | instskip(NEXT) | instid1(SALU_CYCLE_1)
	s_add_nc_u64 s[62:63], s[2:3], s[62:63]
	s_add_co_u32 s58, s58, s62
	s_cselect_b32 s0, -1, 0
	s_delay_alu instid0(SALU_CYCLE_1) | instskip(SKIP_1) | instid1(SALU_CYCLE_1)
	s_cmp_lg_u32 s0, 0
	s_add_co_ci_u32 s59, s59, s63
	s_mul_u64 s[60:61], s[60:61], s[58:59]
	s_delay_alu instid0(SALU_CYCLE_1)
	s_mul_hi_u32 s63, s58, s61
	s_mul_i32 s62, s58, s61
	s_mul_hi_u32 s2, s58, s60
	s_mul_i32 s55, s59, s60
	s_add_nc_u64 s[62:63], s[2:3], s[62:63]
	s_mul_hi_u32 s0, s59, s60
	s_mul_hi_u32 s64, s59, s61
	s_add_co_u32 s2, s62, s55
	s_add_co_ci_u32 s2, s63, s0
	s_mul_i32 s60, s59, s61
	s_add_co_ci_u32 s61, s64, 0
	s_delay_alu instid0(SALU_CYCLE_1) | instskip(NEXT) | instid1(SALU_CYCLE_1)
	s_add_nc_u64 s[60:61], s[2:3], s[60:61]
	s_add_co_u32 s0, s58, s60
	s_cselect_b32 s2, -1, 0
	v_mul_hi_u32 v28, v20, s0
	s_cmp_lg_u32 s2, 0
	s_add_co_ci_u32 s2, s59, s61
	s_and_b64 s[58:59], s[0:1], s[34:35]
	v_mul_u64_e32 v[22:23], s[2:3], v[20:21]
	v_mul_u64_e32 v[14:15], s[58:59], v[24:25]
	;; [unrolled: 1-line block ×3, first 2 shown]
	s_delay_alu instid0(VALU_DEP_3) | instskip(NEXT) | instid1(VALU_DEP_1)
	v_add_nc_u64_e32 v[22:23], v[28:29], v[22:23]
	v_add_co_u32 v3, vcc_lo, v22, v14
	s_delay_alu instid0(VALU_DEP_2) | instskip(NEXT) | instid1(VALU_DEP_4)
	v_add_co_ci_u32_e32 v28, vcc_lo, v23, v15, vcc_lo
	v_add_co_ci_u32_e32 v27, vcc_lo, 0, v27, vcc_lo
	s_delay_alu instid0(VALU_DEP_1) | instskip(NEXT) | instid1(VALU_DEP_1)
	v_add_nc_u64_e32 v[14:15], v[28:29], v[26:27]
	v_mul_u64_e32 v[22:23], s[56:57], v[14:15]
	s_delay_alu instid0(VALU_DEP_1) | instskip(NEXT) | instid1(VALU_DEP_2)
	v_sub_nc_u32_e32 v3, v24, v23
	v_sub_co_u32 v17, vcc_lo, v20, v22
	s_delay_alu instid0(VALU_DEP_1) | instskip(NEXT) | instid1(VALU_DEP_3)
	v_sub_co_ci_u32_e64 v24, null, v24, v23, vcc_lo
	v_subrev_co_ci_u32_e64 v3, null, s57, v3, vcc_lo
	s_delay_alu instid0(VALU_DEP_3) | instskip(SKIP_1) | instid1(VALU_DEP_3)
	v_sub_co_u32 v20, s0, v17, s56
	v_add_nc_u64_e32 v[22:23], 1, v[14:15]
	v_subrev_co_ci_u32_e64 v3, null, 0, v3, s0
	s_delay_alu instid0(VALU_DEP_3) | instskip(SKIP_1) | instid1(VALU_DEP_3)
	v_cmp_le_u32_e32 vcc_lo, s56, v20
	v_cndmask_b32_e64 v20, 0, -1, vcc_lo
	v_cmp_le_u32_e32 vcc_lo, s57, v3
	v_cndmask_b32_e64 v21, 0, -1, vcc_lo
	v_cmp_le_u32_e32 vcc_lo, s56, v17
	v_cndmask_b32_e64 v17, 0, -1, vcc_lo
	v_cmp_le_u32_e32 vcc_lo, s57, v24
	v_cndmask_b32_e64 v25, 0, -1, vcc_lo
	v_cmp_eq_u32_e32 vcc_lo, s57, v3
	v_cndmask_b32_e32 v3, v21, v20, vcc_lo
	v_cmp_eq_u32_e32 vcc_lo, s57, v24
	v_add_nc_u64_e32 v[20:21], 2, v[14:15]
	v_cndmask_b32_e32 v17, v25, v17, vcc_lo
	s_delay_alu instid0(VALU_DEP_4) | instskip(NEXT) | instid1(VALU_DEP_2)
	v_cmp_ne_u32_e32 vcc_lo, 0, v3
	v_cmp_ne_u32_e64 s0, 0, v17
	s_delay_alu instid0(VALU_DEP_4) | instskip(NEXT) | instid1(VALU_DEP_1)
	v_dual_cndmask_b32 v3, v23, v21, vcc_lo :: v_dual_cndmask_b32 v17, v22, v20, vcc_lo
	v_dual_cndmask_b32 v14, v14, v17, s0 :: v_dual_mov_b32 v17, v16
	s_delay_alu instid0(VALU_DEP_1) | instskip(NEXT) | instid1(VALU_DEP_1)
	v_dual_cndmask_b32 v3, v15, v3, s0 :: v_dual_bitop2_b32 v14, v14, v16 bitop3:0x14
	v_xor_b32_e32 v15, v3, v16
	s_delay_alu instid0(VALU_DEP_1)
	v_sub_nc_u64_e32 v[16:17], v[14:15], v[16:17]
                                        ; implicit-def: $vgpr14_vgpr15
.LBB11_29:                              ;   in Loop: Header=BB11_4 Depth=1
	s_and_not1_saveexec_b32 s0, s43
	s_cbranch_execz .LBB11_31
; %bb.30:                               ;   in Loop: Header=BB11_4 Depth=1
	v_cvt_f32_u32_e32 v3, s20
	s_sub_co_i32 s2, 0, s20
	v_mov_b32_e32 v17, v2
	s_delay_alu instid0(VALU_DEP_2) | instskip(SKIP_1) | instid1(TRANS32_DEP_1)
	v_rcp_iflag_f32_e32 v3, v3
	v_nop
	v_mul_f32_e32 v3, 0x4f7ffffe, v3
	s_delay_alu instid0(VALU_DEP_1) | instskip(NEXT) | instid1(VALU_DEP_1)
	v_cvt_u32_f32_e32 v3, v3
	v_mul_lo_u32 v15, s2, v3
	s_delay_alu instid0(VALU_DEP_1) | instskip(NEXT) | instid1(VALU_DEP_1)
	v_mul_hi_u32 v15, v3, v15
	v_add_nc_u32_e32 v3, v3, v15
	s_delay_alu instid0(VALU_DEP_1) | instskip(NEXT) | instid1(VALU_DEP_1)
	v_mul_hi_u32 v3, v14, v3
	v_mul_lo_u32 v15, v3, s20
	s_delay_alu instid0(VALU_DEP_1) | instskip(SKIP_1) | instid1(VALU_DEP_2)
	v_sub_nc_u32_e32 v14, v14, v15
	v_add_nc_u32_e32 v15, 1, v3
	v_subrev_nc_u32_e32 v16, s20, v14
	v_cmp_le_u32_e32 vcc_lo, s20, v14
	s_delay_alu instid0(VALU_DEP_2) | instskip(NEXT) | instid1(VALU_DEP_1)
	v_dual_cndmask_b32 v14, v14, v16 :: v_dual_cndmask_b32 v3, v3, v15
	v_cmp_le_u32_e32 vcc_lo, s20, v14
	s_delay_alu instid0(VALU_DEP_2) | instskip(NEXT) | instid1(VALU_DEP_1)
	v_add_nc_u32_e32 v15, 1, v3
	v_cndmask_b32_e32 v16, v3, v15, vcc_lo
.LBB11_31:                              ;   in Loop: Header=BB11_4 Depth=1
	s_or_b32 exec_lo, exec_lo, s0
	s_delay_alu instid0(VALU_DEP_1)
	v_add_nc_u64_e32 v[14:15], 1, v[16:17]
.LBB11_32:                              ;   in Loop: Header=BB11_4 Depth=1
	s_or_b32 exec_lo, exec_lo, s1
	v_or_b32_e32 v3, s21, v9
                                        ; implicit-def: $vgpr16_vgpr17
	s_mov_b32 s0, exec_lo
	s_delay_alu instid0(VALU_DEP_1)
	v_cmpx_ne_u64_e32 0, v[2:3]
	s_xor_b32 s1, exec_lo, s0
	s_cbranch_execz .LBB11_34
; %bb.33:                               ;   in Loop: Header=BB11_4 Depth=1
	s_ashr_i32 s54, s21, 31
	v_dual_mov_b32 v23, v2 :: v_dual_ashrrev_i32 v16, 31, v9
	s_mov_b32 s55, s54
	v_mov_b32_e32 v27, v2
	s_add_nc_u64 s[56:57], s[20:21], s[54:55]
	s_delay_alu instid0(VALU_DEP_2)
	v_mov_b32_e32 v17, v16
	s_xor_b64 s[56:57], s[56:57], s[54:55]
	v_mov_b32_e32 v31, v2
	s_cvt_f32_u32 s0, s56
	s_cvt_f32_u32 s2, s57
	s_sub_nc_u64 s[60:61], 0, s[56:57]
	v_add_nc_u64_e32 v[20:21], v[8:9], v[16:17]
	s_delay_alu instid0(SALU_CYCLE_1) | instskip(NEXT) | instid1(SALU_CYCLE_3)
	s_fmamk_f32 s0, s2, 0x4f800000, s0
	v_s_rcp_f32 s0, s0
	s_delay_alu instid0(VALU_DEP_1) | instskip(NEXT) | instid1(VALU_DEP_2)
	v_xor_b32_e32 v22, v20, v16
	v_xor_b32_e32 v26, v21, v16
	s_delay_alu instid0(TRANS32_DEP_1) | instskip(NEXT) | instid1(SALU_CYCLE_3)
	s_mul_f32 s0, s0, 0x5f7ffffc
	s_mul_f32 s2, s0, 0x2f800000
	s_delay_alu instid0(SALU_CYCLE_3) | instskip(NEXT) | instid1(SALU_CYCLE_3)
	s_trunc_f32 s2, s2
	s_fmamk_f32 s0, s2, 0xcf800000, s0
	s_cvt_u32_f32 s59, s2
	s_delay_alu instid0(SALU_CYCLE_2) | instskip(NEXT) | instid1(SALU_CYCLE_3)
	s_cvt_u32_f32 s58, s0
	s_mul_u64 s[62:63], s[60:61], s[58:59]
	s_delay_alu instid0(SALU_CYCLE_1)
	s_mul_hi_u32 s65, s58, s63
	s_mul_i32 s64, s58, s63
	s_mul_hi_u32 s2, s58, s62
	s_mul_i32 s43, s59, s62
	s_add_nc_u64 s[64:65], s[2:3], s[64:65]
	s_mul_hi_u32 s0, s59, s62
	s_mul_hi_u32 s55, s59, s63
	s_add_co_u32 s2, s64, s43
	s_add_co_ci_u32 s2, s65, s0
	s_mul_i32 s62, s59, s63
	s_add_co_ci_u32 s63, s55, 0
	s_delay_alu instid0(SALU_CYCLE_1) | instskip(NEXT) | instid1(SALU_CYCLE_1)
	s_add_nc_u64 s[62:63], s[2:3], s[62:63]
	s_add_co_u32 s58, s58, s62
	s_cselect_b32 s0, -1, 0
	s_delay_alu instid0(SALU_CYCLE_1) | instskip(SKIP_1) | instid1(SALU_CYCLE_1)
	s_cmp_lg_u32 s0, 0
	s_add_co_ci_u32 s59, s59, s63
	s_mul_u64 s[60:61], s[60:61], s[58:59]
	s_delay_alu instid0(SALU_CYCLE_1)
	s_mul_hi_u32 s63, s58, s61
	s_mul_i32 s62, s58, s61
	s_mul_hi_u32 s2, s58, s60
	s_mul_i32 s43, s59, s60
	s_add_nc_u64 s[62:63], s[2:3], s[62:63]
	s_mul_hi_u32 s0, s59, s60
	s_mul_hi_u32 s55, s59, s61
	s_add_co_u32 s2, s62, s43
	s_add_co_ci_u32 s2, s63, s0
	s_mul_i32 s60, s59, s61
	s_add_co_ci_u32 s61, s55, 0
	s_delay_alu instid0(SALU_CYCLE_1) | instskip(NEXT) | instid1(SALU_CYCLE_1)
	s_add_nc_u64 s[60:61], s[2:3], s[60:61]
	s_add_co_u32 s0, s58, s60
	s_cselect_b32 s2, -1, 0
	v_mul_hi_u32 v30, v22, s0
	s_cmp_lg_u32 s2, 0
	s_add_co_ci_u32 s2, s59, s61
	s_and_b64 s[58:59], s[0:1], s[34:35]
	v_mul_u64_e32 v[24:25], s[2:3], v[22:23]
	v_mul_u64_e32 v[20:21], s[58:59], v[26:27]
	;; [unrolled: 1-line block ×3, first 2 shown]
	s_delay_alu instid0(VALU_DEP_3) | instskip(NEXT) | instid1(VALU_DEP_1)
	v_add_nc_u64_e32 v[24:25], v[30:31], v[24:25]
	v_add_co_u32 v3, vcc_lo, v24, v20
	s_delay_alu instid0(VALU_DEP_2) | instskip(NEXT) | instid1(VALU_DEP_4)
	v_add_co_ci_u32_e32 v30, vcc_lo, v25, v21, vcc_lo
	v_add_co_ci_u32_e32 v29, vcc_lo, 0, v29, vcc_lo
	s_delay_alu instid0(VALU_DEP_1) | instskip(NEXT) | instid1(VALU_DEP_1)
	v_add_nc_u64_e32 v[20:21], v[30:31], v[28:29]
	v_mul_u64_e32 v[24:25], s[56:57], v[20:21]
	s_delay_alu instid0(VALU_DEP_1) | instskip(NEXT) | instid1(VALU_DEP_2)
	v_sub_nc_u32_e32 v3, v26, v25
	v_sub_co_u32 v17, vcc_lo, v22, v24
	s_delay_alu instid0(VALU_DEP_1) | instskip(NEXT) | instid1(VALU_DEP_3)
	v_sub_co_ci_u32_e64 v26, null, v26, v25, vcc_lo
	v_subrev_co_ci_u32_e64 v3, null, s57, v3, vcc_lo
	s_delay_alu instid0(VALU_DEP_3) | instskip(SKIP_1) | instid1(VALU_DEP_3)
	v_sub_co_u32 v22, s0, v17, s56
	v_add_nc_u64_e32 v[24:25], 1, v[20:21]
	v_subrev_co_ci_u32_e64 v3, null, 0, v3, s0
	s_delay_alu instid0(VALU_DEP_3) | instskip(SKIP_1) | instid1(VALU_DEP_3)
	v_cmp_le_u32_e32 vcc_lo, s56, v22
	v_cndmask_b32_e64 v22, 0, -1, vcc_lo
	v_cmp_le_u32_e32 vcc_lo, s57, v3
	v_cndmask_b32_e64 v23, 0, -1, vcc_lo
	;; [unrolled: 2-line block ×4, first 2 shown]
	v_cmp_eq_u32_e32 vcc_lo, s57, v3
	v_cndmask_b32_e32 v3, v23, v22, vcc_lo
	v_cmp_eq_u32_e32 vcc_lo, s57, v26
	v_add_nc_u64_e32 v[22:23], 2, v[20:21]
	v_cndmask_b32_e32 v17, v27, v17, vcc_lo
	s_delay_alu instid0(VALU_DEP_4) | instskip(NEXT) | instid1(VALU_DEP_3)
	v_cmp_ne_u32_e32 vcc_lo, 0, v3
	v_cndmask_b32_e32 v3, v25, v23, vcc_lo
	s_delay_alu instid0(VALU_DEP_3) | instskip(SKIP_1) | instid1(VALU_DEP_1)
	v_cmp_ne_u32_e64 s0, 0, v17
	v_dual_cndmask_b32 v17, v24, v22, vcc_lo :: v_dual_bitop2_b32 v16, s54, v16 bitop3:0x14
	v_dual_cndmask_b32 v3, v21, v3, s0 :: v_dual_cndmask_b32 v20, v20, v17, s0
	s_delay_alu instid0(VALU_DEP_1) | instskip(NEXT) | instid1(VALU_DEP_2)
	v_dual_mov_b32 v17, v16 :: v_dual_bitop2_b32 v21, v3, v16 bitop3:0x14
	v_xor_b32_e32 v20, v20, v16
	s_delay_alu instid0(VALU_DEP_1)
	v_sub_nc_u64_e32 v[16:17], v[20:21], v[16:17]
.LBB11_34:                              ;   in Loop: Header=BB11_4 Depth=1
	s_and_not1_saveexec_b32 s0, s1
	s_cbranch_execz .LBB11_36
; %bb.35:                               ;   in Loop: Header=BB11_4 Depth=1
	v_cvt_f32_u32_e32 v3, s20
	s_sub_co_i32 s1, 0, s20
	s_delay_alu instid0(VALU_DEP_1) | instskip(SKIP_1) | instid1(TRANS32_DEP_1)
	v_rcp_iflag_f32_e32 v3, v3
	v_nop
	v_mul_f32_e32 v3, 0x4f7ffffe, v3
	s_delay_alu instid0(VALU_DEP_1) | instskip(NEXT) | instid1(VALU_DEP_1)
	v_cvt_u32_f32_e32 v3, v3
	v_mul_lo_u32 v16, s1, v3
	s_delay_alu instid0(VALU_DEP_1) | instskip(NEXT) | instid1(VALU_DEP_1)
	v_mul_hi_u32 v16, v3, v16
	v_add_nc_u32_e32 v3, v3, v16
	s_delay_alu instid0(VALU_DEP_1) | instskip(NEXT) | instid1(VALU_DEP_1)
	v_mul_hi_u32 v3, v8, v3
	v_mul_lo_u32 v16, v3, s20
	s_delay_alu instid0(VALU_DEP_1) | instskip(NEXT) | instid1(VALU_DEP_1)
	v_sub_nc_u32_e32 v16, v8, v16
	v_subrev_nc_u32_e32 v20, s20, v16
	v_cmp_le_u32_e32 vcc_lo, s20, v16
	s_delay_alu instid0(VALU_DEP_2) | instskip(NEXT) | instid1(VALU_DEP_1)
	v_dual_cndmask_b32 v16, v16, v20 :: v_dual_add_nc_u32 v17, 1, v3
	v_cndmask_b32_e32 v3, v3, v17, vcc_lo
	s_delay_alu instid0(VALU_DEP_2) | instskip(NEXT) | instid1(VALU_DEP_2)
	v_cmp_le_u32_e32 vcc_lo, s20, v16
	v_add_nc_u32_e32 v17, 1, v3
	s_delay_alu instid0(VALU_DEP_1)
	v_dual_cndmask_b32 v16, v3, v17 :: v_dual_mov_b32 v17, v2
.LBB11_36:                              ;   in Loop: Header=BB11_4 Depth=1
	s_or_b32 exec_lo, exec_lo, s0
	s_delay_alu instid0(VALU_DEP_1) | instskip(SKIP_2) | instid1(VALU_DEP_2)
	v_add_nc_u64_e32 v[16:17], 1, v[16:17]
	v_mov_b32_e32 v33, 0
	s_mov_b32 s43, exec_lo
	v_min_i64 v[16:17], v[16:17], s[36:37]
	s_delay_alu instid0(VALU_DEP_1)
	v_cmpx_lt_i64_e64 v[14:15], v[16:17]
	s_cbranch_execz .LBB11_3
; %bb.37:                               ;   in Loop: Header=BB11_4 Depth=1
	v_add_nc_u64_e32 v[18:19], 1, v[18:19]
	v_mul_u64_e32 v[20:21], s[22:23], v[6:7]
	v_mul_u64_e32 v[10:11], s[12:13], v[10:11]
	v_add_nc_u64_e32 v[22:23], s[18:19], v[4:5]
	v_mov_b32_e32 v33, 0
	s_mov_b32 s58, 0
	v_min_i64 v[18:19], v[18:19], s[38:39]
	s_delay_alu instid0(VALU_DEP_3) | instskip(NEXT) | instid1(VALU_DEP_2)
	v_sub_nc_u64_e32 v[20:21], v[22:23], v[20:21]
	v_cmp_lt_i64_e64 s0, v[6:7], v[18:19]
	s_delay_alu instid0(VALU_DEP_2)
	v_sub_nc_u64_e32 v[12:13], v[20:21], v[12:13]
	v_lshl_add_u64 v[20:21], v[6:7], 1, s[6:7]
	s_branch .LBB11_40
.LBB11_38:                              ;   in Loop: Header=BB11_40 Depth=2
	s_or_b32 exec_lo, exec_lo, s60
.LBB11_39:                              ;   in Loop: Header=BB11_40 Depth=2
	s_delay_alu instid0(SALU_CYCLE_1) | instskip(SKIP_1) | instid1(VALU_DEP_1)
	s_or_b32 exec_lo, exec_lo, s59
	v_add_nc_u64_e32 v[14:15], 1, v[14:15]
	v_cmp_ge_i64_e32 vcc_lo, v[14:15], v[16:17]
	s_or_b32 s58, vcc_lo, s58
	s_delay_alu instid0(SALU_CYCLE_1)
	s_and_not1_b32 exec_lo, exec_lo, s58
	s_cbranch_execz .LBB11_2
.LBB11_40:                              ;   Parent Loop BB11_4 Depth=1
                                        ; =>  This Loop Header: Depth=2
                                        ;       Child Loop BB11_48 Depth 3
	s_delay_alu instid0(VALU_DEP_3)
	s_and_saveexec_b32 s59, s0
	s_cbranch_execz .LBB11_39
; %bb.41:                               ;   in Loop: Header=BB11_40 Depth=2
	v_mul_u64_e32 v[22:23], s[20:21], v[14:15]
	s_mov_b32 s1, exec_lo
	s_delay_alu instid0(VALU_DEP_1) | instskip(NEXT) | instid1(VALU_DEP_1)
	v_sub_nc_u64_e32 v[24:25], v[8:9], v[22:23]
                                        ; implicit-def: $vgpr22_vgpr23
	v_or_b32_e32 v3, s25, v25
	s_delay_alu instid0(VALU_DEP_1)
	v_cmpx_ne_u64_e32 0, v[2:3]
	s_xor_b32 s60, exec_lo, s1
	s_cbranch_execz .LBB11_43
; %bb.42:                               ;   in Loop: Header=BB11_40 Depth=2
	s_ashr_i32 s54, s25, 31
	v_dual_mov_b32 v29, v2 :: v_dual_ashrrev_i32 v22, 31, v25
	s_mov_b32 s55, s54
	v_mov_b32_e32 v35, v2
	s_add_nc_u64 s[56:57], s[24:25], s[54:55]
	s_delay_alu instid0(VALU_DEP_2)
	v_mov_b32_e32 v23, v22
	s_xor_b64 s[56:57], s[56:57], s[54:55]
	v_mov_b32_e32 v39, v2
	s_cvt_f32_u32 s1, s56
	s_cvt_f32_u32 s2, s57
	s_sub_nc_u64 s[64:65], 0, s[56:57]
	v_add_nc_u64_e32 v[26:27], v[24:25], v[22:23]
	s_delay_alu instid0(SALU_CYCLE_1) | instskip(NEXT) | instid1(SALU_CYCLE_3)
	s_fmamk_f32 s1, s2, 0x4f800000, s1
	v_s_rcp_f32 s1, s1
	s_delay_alu instid0(VALU_DEP_1) | instskip(NEXT) | instid1(VALU_DEP_2)
	v_xor_b32_e32 v28, v26, v22
	v_xor_b32_e32 v34, v27, v22
	;; [unrolled: 1-line block ×3, first 2 shown]
	s_delay_alu instid0(TRANS32_DEP_1) | instskip(NEXT) | instid1(SALU_CYCLE_3)
	s_mul_f32 s1, s1, 0x5f7ffffc
	s_mul_f32 s2, s1, 0x2f800000
	s_delay_alu instid0(SALU_CYCLE_3) | instskip(NEXT) | instid1(SALU_CYCLE_3)
	s_trunc_f32 s2, s2
	s_fmamk_f32 s1, s2, 0xcf800000, s1
	s_cvt_u32_f32 s63, s2
	s_delay_alu instid0(SALU_CYCLE_2) | instskip(NEXT) | instid1(SALU_CYCLE_3)
	s_cvt_u32_f32 s62, s1
	s_mul_u64 s[66:67], s[64:65], s[62:63]
	s_delay_alu instid0(SALU_CYCLE_1)
	s_mul_hi_u32 s69, s62, s67
	s_mul_i32 s68, s62, s67
	s_mul_hi_u32 s2, s62, s66
	s_mul_i32 s55, s63, s66
	s_add_nc_u64 s[68:69], s[2:3], s[68:69]
	s_mul_hi_u32 s1, s63, s66
	s_mul_hi_u32 s61, s63, s67
	s_add_co_u32 s2, s68, s55
	s_add_co_ci_u32 s2, s69, s1
	s_mul_i32 s66, s63, s67
	s_add_co_ci_u32 s67, s61, 0
	s_delay_alu instid0(SALU_CYCLE_1) | instskip(NEXT) | instid1(SALU_CYCLE_1)
	s_add_nc_u64 s[66:67], s[2:3], s[66:67]
	s_add_co_u32 s62, s62, s66
	s_cselect_b32 s1, -1, 0
	s_delay_alu instid0(SALU_CYCLE_1) | instskip(SKIP_1) | instid1(SALU_CYCLE_1)
	s_cmp_lg_u32 s1, 0
	s_add_co_ci_u32 s63, s63, s67
	s_mul_u64 s[64:65], s[64:65], s[62:63]
	s_delay_alu instid0(SALU_CYCLE_1)
	s_mul_hi_u32 s67, s62, s65
	s_mul_i32 s66, s62, s65
	s_mul_hi_u32 s2, s62, s64
	s_mul_i32 s55, s63, s64
	s_add_nc_u64 s[66:67], s[2:3], s[66:67]
	s_mul_hi_u32 s1, s63, s64
	s_mul_hi_u32 s61, s63, s65
	s_add_co_u32 s2, s66, s55
	s_add_co_ci_u32 s2, s67, s1
	s_mul_i32 s64, s63, s65
	s_add_co_ci_u32 s65, s61, 0
	s_delay_alu instid0(SALU_CYCLE_1) | instskip(NEXT) | instid1(SALU_CYCLE_1)
	s_add_nc_u64 s[64:65], s[2:3], s[64:65]
	s_add_co_u32 s62, s62, s64
	s_cselect_b32 s1, -1, 0
	v_mul_hi_u32 v38, v28, s62
	s_cmp_lg_u32 s1, 0
	s_add_co_ci_u32 s2, s63, s65
	s_and_b64 s[64:65], s[62:63], s[34:35]
	v_mul_u64_e32 v[30:31], s[2:3], v[28:29]
	v_mul_u64_e32 v[26:27], s[64:65], v[34:35]
	;; [unrolled: 1-line block ×3, first 2 shown]
	s_delay_alu instid0(VALU_DEP_3) | instskip(NEXT) | instid1(VALU_DEP_1)
	v_add_nc_u64_e32 v[30:31], v[38:39], v[30:31]
	v_add_co_u32 v3, vcc_lo, v30, v26
	s_delay_alu instid0(VALU_DEP_2) | instskip(NEXT) | instid1(VALU_DEP_4)
	v_add_co_ci_u32_e32 v38, vcc_lo, v31, v27, vcc_lo
	v_add_co_ci_u32_e32 v37, vcc_lo, 0, v37, vcc_lo
	s_delay_alu instid0(VALU_DEP_1) | instskip(NEXT) | instid1(VALU_DEP_1)
	v_add_nc_u64_e32 v[26:27], v[38:39], v[36:37]
	v_mul_u64_e32 v[30:31], s[56:57], v[26:27]
	s_delay_alu instid0(VALU_DEP_1) | instskip(NEXT) | instid1(VALU_DEP_2)
	v_sub_nc_u32_e32 v3, v34, v31
	v_sub_co_u32 v23, vcc_lo, v28, v30
	s_delay_alu instid0(VALU_DEP_1) | instskip(NEXT) | instid1(VALU_DEP_3)
	v_sub_co_ci_u32_e64 v34, null, v34, v31, vcc_lo
	v_subrev_co_ci_u32_e64 v3, null, s57, v3, vcc_lo
	s_delay_alu instid0(VALU_DEP_3) | instskip(SKIP_1) | instid1(VALU_DEP_3)
	v_sub_co_u32 v28, s1, v23, s56
	v_add_nc_u64_e32 v[30:31], 1, v[26:27]
	v_subrev_co_ci_u32_e64 v3, null, 0, v3, s1
	s_delay_alu instid0(VALU_DEP_3) | instskip(SKIP_1) | instid1(VALU_DEP_3)
	v_cmp_le_u32_e32 vcc_lo, s56, v28
	v_cndmask_b32_e64 v28, 0, -1, vcc_lo
	v_cmp_le_u32_e32 vcc_lo, s57, v3
	v_cndmask_b32_e64 v29, 0, -1, vcc_lo
	;; [unrolled: 2-line block ×4, first 2 shown]
	v_cmp_eq_u32_e32 vcc_lo, s57, v3
	v_cndmask_b32_e32 v3, v29, v28, vcc_lo
	v_cmp_eq_u32_e32 vcc_lo, s57, v34
	v_add_nc_u64_e32 v[28:29], 2, v[26:27]
	v_cndmask_b32_e32 v23, v35, v23, vcc_lo
	s_delay_alu instid0(VALU_DEP_4) | instskip(NEXT) | instid1(VALU_DEP_2)
	v_cmp_ne_u32_e32 vcc_lo, 0, v3
	v_cmp_ne_u32_e64 s1, 0, v23
	s_delay_alu instid0(VALU_DEP_4) | instskip(NEXT) | instid1(VALU_DEP_1)
	v_dual_cndmask_b32 v23, v30, v28, vcc_lo :: v_dual_cndmask_b32 v3, v31, v29, vcc_lo
	v_cndmask_b32_e64 v26, v26, v23, s1
	s_delay_alu instid0(VALU_DEP_2) | instskip(NEXT) | instid1(VALU_DEP_2)
	v_dual_cndmask_b32 v3, v27, v3, s1 :: v_dual_mov_b32 v23, v22
	v_xor_b32_e32 v26, v26, v22
	s_delay_alu instid0(VALU_DEP_2) | instskip(NEXT) | instid1(VALU_DEP_1)
	v_xor_b32_e32 v27, v3, v22
	v_sub_nc_u64_e32 v[22:23], v[26:27], v[22:23]
.LBB11_43:                              ;   in Loop: Header=BB11_40 Depth=2
	s_and_not1_saveexec_b32 s1, s60
	s_cbranch_execz .LBB11_45
; %bb.44:                               ;   in Loop: Header=BB11_40 Depth=2
	v_cvt_f32_u32_e32 v3, s24
	s_sub_co_i32 s2, 0, s24
	s_delay_alu instid0(VALU_DEP_1) | instskip(SKIP_1) | instid1(TRANS32_DEP_1)
	v_rcp_iflag_f32_e32 v3, v3
	v_nop
	v_mul_f32_e32 v3, 0x4f7ffffe, v3
	s_delay_alu instid0(VALU_DEP_1) | instskip(NEXT) | instid1(VALU_DEP_1)
	v_cvt_u32_f32_e32 v3, v3
	v_mul_lo_u32 v22, s2, v3
	s_delay_alu instid0(VALU_DEP_1) | instskip(NEXT) | instid1(VALU_DEP_1)
	v_mul_hi_u32 v22, v3, v22
	v_add_nc_u32_e32 v3, v3, v22
	s_delay_alu instid0(VALU_DEP_1) | instskip(NEXT) | instid1(VALU_DEP_1)
	v_mul_hi_u32 v3, v24, v3
	v_mul_lo_u32 v22, v3, s24
	s_delay_alu instid0(VALU_DEP_1) | instskip(NEXT) | instid1(VALU_DEP_1)
	v_sub_nc_u32_e32 v22, v24, v22
	v_subrev_nc_u32_e32 v26, s24, v22
	v_cmp_le_u32_e32 vcc_lo, s24, v22
	s_delay_alu instid0(VALU_DEP_2) | instskip(NEXT) | instid1(VALU_DEP_1)
	v_dual_cndmask_b32 v22, v22, v26 :: v_dual_add_nc_u32 v23, 1, v3
	v_cndmask_b32_e32 v3, v3, v23, vcc_lo
	s_delay_alu instid0(VALU_DEP_2) | instskip(NEXT) | instid1(VALU_DEP_2)
	v_cmp_le_u32_e32 vcc_lo, s24, v22
	v_add_nc_u32_e32 v23, 1, v3
	s_delay_alu instid0(VALU_DEP_1)
	v_dual_cndmask_b32 v22, v3, v23 :: v_dual_mov_b32 v23, v2
.LBB11_45:                              ;   in Loop: Header=BB11_40 Depth=2
	s_or_b32 exec_lo, exec_lo, s1
	s_delay_alu instid0(VALU_DEP_1) | instskip(SKIP_3) | instid1(VALU_DEP_2)
	v_mul_u64_e32 v[26:27], s[24:25], v[22:23]
	v_add_nc_u64_e32 v[22:23], v[22:23], v[10:11]
	v_mov_b64_e32 v[28:29], v[6:7]
	s_mov_b32 s60, 0
	v_mul_u64_e32 v[22:23], s[14:15], v[22:23]
	s_delay_alu instid0(VALU_DEP_4) | instskip(SKIP_1) | instid1(VALU_DEP_2)
	v_sub_nc_u64_e32 v[24:25], v[24:25], v[26:27]
	v_mov_b64_e32 v[26:27], v[20:21]
	v_cmp_eq_u64_e64 s1, 0, v[24:25]
	v_mov_b64_e32 v[24:25], v[12:13]
	s_branch .LBB11_48
.LBB11_46:                              ;   in Loop: Header=BB11_48 Depth=3
	s_wait_xcnt 0x0
	s_or_b32 exec_lo, exec_lo, s2
.LBB11_47:                              ;   in Loop: Header=BB11_48 Depth=3
	s_delay_alu instid0(SALU_CYCLE_1) | instskip(SKIP_3) | instid1(VALU_DEP_3)
	s_or_b32 exec_lo, exec_lo, s61
	v_add_nc_u64_e32 v[28:29], 1, v[28:29]
	v_add_nc_u64_e32 v[26:27], 2, v[26:27]
	v_sub_nc_u64_e64 v[24:25], v[24:25], s[22:23]
	v_cmp_ge_i64_e32 vcc_lo, v[28:29], v[18:19]
	s_or_b32 s60, vcc_lo, s60
	s_delay_alu instid0(SALU_CYCLE_1)
	s_and_not1_b32 exec_lo, exec_lo, s60
	s_cbranch_execz .LBB11_38
.LBB11_48:                              ;   Parent Loop BB11_4 Depth=1
                                        ;     Parent Loop BB11_40 Depth=2
                                        ; =>    This Inner Loop Header: Depth=3
	s_delay_alu instid0(VALU_DEP_2)
	s_and_saveexec_b32 s61, s1
	s_cbranch_execz .LBB11_47
; %bb.49:                               ;   in Loop: Header=BB11_48 Depth=3
	s_delay_alu instid0(VALU_DEP_1) | instskip(SKIP_1) | instid1(VALU_DEP_1)
	v_or_b32_e32 v3, s27, v25
                                        ; implicit-def: $vgpr30_vgpr31
	s_mov_b32 s2, exec_lo
	v_cmpx_ne_u64_e32 0, v[2:3]
	s_xor_b32 s62, exec_lo, s2
	s_cbranch_execz .LBB11_51
; %bb.50:                               ;   in Loop: Header=BB11_48 Depth=3
	s_ashr_i32 s54, s27, 31
	v_dual_mov_b32 v37, v2 :: v_dual_ashrrev_i32 v30, 31, v25
	s_mov_b32 s55, s54
	v_mov_b32_e32 v41, v2
	s_add_nc_u64 s[56:57], s[26:27], s[54:55]
	s_delay_alu instid0(VALU_DEP_2)
	v_mov_b32_e32 v31, v30
	s_xor_b64 s[56:57], s[56:57], s[54:55]
	v_mov_b32_e32 v45, v2
	s_cvt_f32_u32 s2, s56
	s_cvt_f32_u32 s55, s57
	s_sub_nc_u64 s[66:67], 0, s[56:57]
	v_add_nc_u64_e32 v[34:35], v[24:25], v[30:31]
	s_delay_alu instid0(SALU_CYCLE_1) | instskip(NEXT) | instid1(SALU_CYCLE_3)
	s_fmamk_f32 s2, s55, 0x4f800000, s2
	v_s_rcp_f32 s2, s2
	s_delay_alu instid0(VALU_DEP_1) | instskip(NEXT) | instid1(VALU_DEP_2)
	v_xor_b32_e32 v40, v35, v30
	v_xor_b32_e32 v36, v34, v30
	s_delay_alu instid0(TRANS32_DEP_1) | instskip(NEXT) | instid1(SALU_CYCLE_3)
	s_mul_f32 s2, s2, 0x5f7ffffc
	s_mul_f32 s55, s2, 0x2f800000
	s_delay_alu instid0(SALU_CYCLE_3) | instskip(NEXT) | instid1(SALU_CYCLE_3)
	s_trunc_f32 s55, s55
	s_fmamk_f32 s2, s55, 0xcf800000, s2
	s_cvt_u32_f32 s65, s55
	s_delay_alu instid0(SALU_CYCLE_2) | instskip(NEXT) | instid1(SALU_CYCLE_3)
	s_cvt_u32_f32 s64, s2
	s_mul_u64 s[68:69], s[66:67], s[64:65]
	s_delay_alu instid0(SALU_CYCLE_1)
	s_mul_hi_u32 s71, s64, s69
	s_mul_i32 s70, s64, s69
	s_mul_hi_u32 s2, s64, s68
	s_mul_i32 s63, s65, s68
	s_add_nc_u64 s[70:71], s[2:3], s[70:71]
	s_mul_hi_u32 s55, s65, s68
	s_mul_hi_u32 s72, s65, s69
	s_add_co_u32 s2, s70, s63
	s_add_co_ci_u32 s2, s71, s55
	s_mul_i32 s68, s65, s69
	s_add_co_ci_u32 s69, s72, 0
	s_delay_alu instid0(SALU_CYCLE_1) | instskip(NEXT) | instid1(SALU_CYCLE_1)
	s_add_nc_u64 s[68:69], s[2:3], s[68:69]
	s_add_co_u32 s64, s64, s68
	s_cselect_b32 s2, -1, 0
	s_delay_alu instid0(SALU_CYCLE_1) | instskip(SKIP_1) | instid1(SALU_CYCLE_1)
	s_cmp_lg_u32 s2, 0
	s_add_co_ci_u32 s65, s65, s69
	s_mul_u64 s[66:67], s[66:67], s[64:65]
	s_delay_alu instid0(SALU_CYCLE_1)
	s_mul_hi_u32 s69, s64, s67
	s_mul_i32 s68, s64, s67
	s_mul_hi_u32 s2, s64, s66
	s_mul_i32 s63, s65, s66
	s_add_nc_u64 s[68:69], s[2:3], s[68:69]
	s_mul_hi_u32 s55, s65, s66
	s_mul_hi_u32 s70, s65, s67
	s_add_co_u32 s2, s68, s63
	s_add_co_ci_u32 s2, s69, s55
	s_mul_i32 s66, s65, s67
	s_add_co_ci_u32 s67, s70, 0
	s_delay_alu instid0(SALU_CYCLE_1) | instskip(NEXT) | instid1(SALU_CYCLE_1)
	s_add_nc_u64 s[66:67], s[2:3], s[66:67]
	s_add_co_u32 s64, s64, s66
	s_cselect_b32 s2, -1, 0
	v_mul_hi_u32 v44, v36, s64
	s_cmp_lg_u32 s2, 0
	s_add_co_ci_u32 s2, s65, s67
	s_and_b64 s[66:67], s[64:65], s[34:35]
	v_mul_u64_e32 v[38:39], s[2:3], v[36:37]
	v_mul_u64_e32 v[34:35], s[66:67], v[40:41]
	;; [unrolled: 1-line block ×3, first 2 shown]
	s_delay_alu instid0(VALU_DEP_3) | instskip(NEXT) | instid1(VALU_DEP_1)
	v_add_nc_u64_e32 v[38:39], v[44:45], v[38:39]
	v_add_co_u32 v3, vcc_lo, v38, v34
	s_delay_alu instid0(VALU_DEP_2) | instskip(NEXT) | instid1(VALU_DEP_4)
	v_add_co_ci_u32_e32 v44, vcc_lo, v39, v35, vcc_lo
	v_add_co_ci_u32_e32 v43, vcc_lo, 0, v43, vcc_lo
	s_delay_alu instid0(VALU_DEP_1) | instskip(NEXT) | instid1(VALU_DEP_1)
	v_add_nc_u64_e32 v[34:35], v[44:45], v[42:43]
	v_mul_u64_e32 v[38:39], s[56:57], v[34:35]
	s_delay_alu instid0(VALU_DEP_1) | instskip(NEXT) | instid1(VALU_DEP_2)
	v_sub_nc_u32_e32 v3, v40, v39
	v_sub_co_u32 v31, vcc_lo, v36, v38
	s_delay_alu instid0(VALU_DEP_1) | instskip(NEXT) | instid1(VALU_DEP_3)
	v_sub_co_ci_u32_e64 v40, null, v40, v39, vcc_lo
	v_subrev_co_ci_u32_e64 v3, null, s57, v3, vcc_lo
	s_delay_alu instid0(VALU_DEP_3) | instskip(SKIP_1) | instid1(VALU_DEP_3)
	v_sub_co_u32 v36, s2, v31, s56
	v_add_nc_u64_e32 v[38:39], 1, v[34:35]
	v_subrev_co_ci_u32_e64 v3, null, 0, v3, s2
	s_delay_alu instid0(VALU_DEP_3) | instskip(SKIP_1) | instid1(VALU_DEP_3)
	v_cmp_le_u32_e32 vcc_lo, s56, v36
	v_cndmask_b32_e64 v36, 0, -1, vcc_lo
	v_cmp_le_u32_e32 vcc_lo, s57, v3
	v_cndmask_b32_e64 v37, 0, -1, vcc_lo
	;; [unrolled: 2-line block ×4, first 2 shown]
	v_cmp_eq_u32_e32 vcc_lo, s57, v3
	v_cndmask_b32_e32 v3, v37, v36, vcc_lo
	v_cmp_eq_u32_e32 vcc_lo, s57, v40
	v_add_nc_u64_e32 v[36:37], 2, v[34:35]
	v_cndmask_b32_e32 v31, v41, v31, vcc_lo
	s_delay_alu instid0(VALU_DEP_4) | instskip(NEXT) | instid1(VALU_DEP_3)
	v_cmp_ne_u32_e32 vcc_lo, 0, v3
	v_cndmask_b32_e32 v3, v39, v37, vcc_lo
	s_delay_alu instid0(VALU_DEP_3) | instskip(SKIP_1) | instid1(VALU_DEP_2)
	v_cmp_ne_u32_e64 s2, 0, v31
	v_dual_cndmask_b32 v31, v38, v36, vcc_lo :: v_dual_bitop2_b32 v30, s54, v30 bitop3:0x14
	v_cndmask_b32_e64 v3, v35, v3, s2
	s_delay_alu instid0(VALU_DEP_2) | instskip(NEXT) | instid1(VALU_DEP_2)
	v_cndmask_b32_e64 v34, v34, v31, s2
	v_dual_mov_b32 v31, v30 :: v_dual_bitop2_b32 v35, v3, v30 bitop3:0x14
	s_delay_alu instid0(VALU_DEP_2) | instskip(NEXT) | instid1(VALU_DEP_1)
	v_xor_b32_e32 v34, v34, v30
	v_sub_nc_u64_e32 v[30:31], v[34:35], v[30:31]
.LBB11_51:                              ;   in Loop: Header=BB11_48 Depth=3
	s_and_not1_saveexec_b32 s2, s62
	s_cbranch_execz .LBB11_53
; %bb.52:                               ;   in Loop: Header=BB11_48 Depth=3
	v_cvt_f32_u32_e32 v3, s26
	s_sub_co_i32 s54, 0, s26
	s_delay_alu instid0(VALU_DEP_1) | instskip(SKIP_1) | instid1(TRANS32_DEP_1)
	v_rcp_iflag_f32_e32 v3, v3
	v_nop
	v_mul_f32_e32 v3, 0x4f7ffffe, v3
	s_delay_alu instid0(VALU_DEP_1) | instskip(NEXT) | instid1(VALU_DEP_1)
	v_cvt_u32_f32_e32 v3, v3
	v_mul_lo_u32 v30, s54, v3
	s_delay_alu instid0(VALU_DEP_1) | instskip(NEXT) | instid1(VALU_DEP_1)
	v_mul_hi_u32 v30, v3, v30
	v_add_nc_u32_e32 v3, v3, v30
	s_delay_alu instid0(VALU_DEP_1) | instskip(NEXT) | instid1(VALU_DEP_1)
	v_mul_hi_u32 v3, v24, v3
	v_mul_lo_u32 v30, v3, s26
	s_delay_alu instid0(VALU_DEP_1) | instskip(NEXT) | instid1(VALU_DEP_1)
	v_sub_nc_u32_e32 v30, v24, v30
	v_subrev_nc_u32_e32 v34, s26, v30
	v_cmp_le_u32_e32 vcc_lo, s26, v30
	s_delay_alu instid0(VALU_DEP_2) | instskip(NEXT) | instid1(VALU_DEP_1)
	v_dual_cndmask_b32 v30, v30, v34 :: v_dual_add_nc_u32 v31, 1, v3
	v_cndmask_b32_e32 v3, v3, v31, vcc_lo
	s_delay_alu instid0(VALU_DEP_2) | instskip(NEXT) | instid1(VALU_DEP_2)
	v_cmp_le_u32_e32 vcc_lo, s26, v30
	v_add_nc_u32_e32 v31, 1, v3
	s_delay_alu instid0(VALU_DEP_1)
	v_dual_cndmask_b32 v30, v3, v31 :: v_dual_mov_b32 v31, v2
.LBB11_53:                              ;   in Loop: Header=BB11_48 Depth=3
	s_or_b32 exec_lo, exec_lo, s2
	s_delay_alu instid0(VALU_DEP_1) | instskip(SKIP_1) | instid1(VALU_DEP_1)
	v_mul_u64_e32 v[34:35], s[26:27], v[30:31]
	s_mov_b32 s2, exec_lo
	v_sub_nc_u64_e32 v[34:35], v[24:25], v[34:35]
	s_delay_alu instid0(VALU_DEP_1)
	v_cmpx_eq_u64_e32 0, v[34:35]
	s_cbranch_execz .LBB11_46
; %bb.54:                               ;   in Loop: Header=BB11_48 Depth=3
	v_add_nc_u64_e32 v[30:31], v[22:23], v[30:31]
	s_delay_alu instid0(VALU_DEP_1) | instskip(NEXT) | instid1(VALU_DEP_1)
	v_mad_nc_u64_u32 v[34:35], v30, s36, v[14:15]
	v_mad_u32 v3, v31, s36, v35
	s_delay_alu instid0(VALU_DEP_2) | instskip(NEXT) | instid1(VALU_DEP_2)
	v_mad_nc_u64_u32 v[36:37], s48, v34, v[26:27]
	v_mad_u32 v3, v30, s37, v3
	s_delay_alu instid0(VALU_DEP_2) | instskip(NEXT) | instid1(VALU_DEP_1)
	v_mad_u32 v30, s49, v34, v37
	v_mad_u32 v37, s48, v3, v30
	global_load_u16 v3, v[36:37], off
	s_wait_loadcnt 0x0
	v_add_f16_e32 v33, v33, v3
	s_branch .LBB11_46
.LBB11_55:
	s_endpgm
	.section	.rodata,"a",@progbits
	.p2align	6, 0x0
	.amdhsa_kernel _ZN2at6native13col2im_kernelIN3c104HalfES3_EEvlPKT_llllllllllllPS4_
		.amdhsa_group_segment_fixed_size 0
		.amdhsa_private_segment_fixed_size 0
		.amdhsa_kernarg_size 376
		.amdhsa_user_sgpr_count 2
		.amdhsa_user_sgpr_dispatch_ptr 0
		.amdhsa_user_sgpr_queue_ptr 0
		.amdhsa_user_sgpr_kernarg_segment_ptr 1
		.amdhsa_user_sgpr_dispatch_id 0
		.amdhsa_user_sgpr_kernarg_preload_length 0
		.amdhsa_user_sgpr_kernarg_preload_offset 0
		.amdhsa_user_sgpr_private_segment_size 0
		.amdhsa_wavefront_size32 1
		.amdhsa_uses_dynamic_stack 0
		.amdhsa_enable_private_segment 0
		.amdhsa_system_sgpr_workgroup_id_x 1
		.amdhsa_system_sgpr_workgroup_id_y 0
		.amdhsa_system_sgpr_workgroup_id_z 0
		.amdhsa_system_sgpr_workgroup_info 0
		.amdhsa_system_vgpr_workitem_id 0
		.amdhsa_next_free_vgpr 46
		.amdhsa_next_free_sgpr 73
		.amdhsa_named_barrier_count 0
		.amdhsa_reserve_vcc 1
		.amdhsa_float_round_mode_32 0
		.amdhsa_float_round_mode_16_64 0
		.amdhsa_float_denorm_mode_32 3
		.amdhsa_float_denorm_mode_16_64 3
		.amdhsa_fp16_overflow 0
		.amdhsa_memory_ordered 1
		.amdhsa_forward_progress 1
		.amdhsa_inst_pref_size 58
		.amdhsa_round_robin_scheduling 0
		.amdhsa_exception_fp_ieee_invalid_op 0
		.amdhsa_exception_fp_denorm_src 0
		.amdhsa_exception_fp_ieee_div_zero 0
		.amdhsa_exception_fp_ieee_overflow 0
		.amdhsa_exception_fp_ieee_underflow 0
		.amdhsa_exception_fp_ieee_inexact 0
		.amdhsa_exception_int_div_zero 0
	.end_amdhsa_kernel
	.section	.text._ZN2at6native13col2im_kernelIN3c104HalfES3_EEvlPKT_llllllllllllPS4_,"axG",@progbits,_ZN2at6native13col2im_kernelIN3c104HalfES3_EEvlPKT_llllllllllllPS4_,comdat
.Lfunc_end11:
	.size	_ZN2at6native13col2im_kernelIN3c104HalfES3_EEvlPKT_llllllllllllPS4_, .Lfunc_end11-_ZN2at6native13col2im_kernelIN3c104HalfES3_EEvlPKT_llllllllllllPS4_
                                        ; -- End function
	.set _ZN2at6native13col2im_kernelIN3c104HalfES3_EEvlPKT_llllllllllllPS4_.num_vgpr, 46
	.set _ZN2at6native13col2im_kernelIN3c104HalfES3_EEvlPKT_llllllllllllPS4_.num_agpr, 0
	.set _ZN2at6native13col2im_kernelIN3c104HalfES3_EEvlPKT_llllllllllllPS4_.numbered_sgpr, 73
	.set _ZN2at6native13col2im_kernelIN3c104HalfES3_EEvlPKT_llllllllllllPS4_.num_named_barrier, 0
	.set _ZN2at6native13col2im_kernelIN3c104HalfES3_EEvlPKT_llllllllllllPS4_.private_seg_size, 0
	.set _ZN2at6native13col2im_kernelIN3c104HalfES3_EEvlPKT_llllllllllllPS4_.uses_vcc, 1
	.set _ZN2at6native13col2im_kernelIN3c104HalfES3_EEvlPKT_llllllllllllPS4_.uses_flat_scratch, 0
	.set _ZN2at6native13col2im_kernelIN3c104HalfES3_EEvlPKT_llllllllllllPS4_.has_dyn_sized_stack, 0
	.set _ZN2at6native13col2im_kernelIN3c104HalfES3_EEvlPKT_llllllllllllPS4_.has_recursion, 0
	.set _ZN2at6native13col2im_kernelIN3c104HalfES3_EEvlPKT_llllllllllllPS4_.has_indirect_call, 0
	.section	.AMDGPU.csdata,"",@progbits
; Kernel info:
; codeLenInByte = 7400
; TotalNumSgprs: 75
; NumVgprs: 46
; ScratchSize: 0
; MemoryBound: 0
; FloatMode: 240
; IeeeMode: 1
; LDSByteSize: 0 bytes/workgroup (compile time only)
; SGPRBlocks: 0
; VGPRBlocks: 2
; NumSGPRsForWavesPerEU: 75
; NumVGPRsForWavesPerEU: 46
; NamedBarCnt: 0
; Occupancy: 16
; WaveLimiterHint : 0
; COMPUTE_PGM_RSRC2:SCRATCH_EN: 0
; COMPUTE_PGM_RSRC2:USER_SGPR: 2
; COMPUTE_PGM_RSRC2:TRAP_HANDLER: 0
; COMPUTE_PGM_RSRC2:TGID_X_EN: 1
; COMPUTE_PGM_RSRC2:TGID_Y_EN: 0
; COMPUTE_PGM_RSRC2:TGID_Z_EN: 0
; COMPUTE_PGM_RSRC2:TIDIG_COMP_CNT: 0
	.section	.text._ZN2at6native14vol2col_kernelIN3c108BFloat16EEEvlPKT_iiiiiiiiiiiiiiiiiiPS4_,"axG",@progbits,_ZN2at6native14vol2col_kernelIN3c108BFloat16EEEvlPKT_iiiiiiiiiiiiiiiiiiPS4_,comdat
	.protected	_ZN2at6native14vol2col_kernelIN3c108BFloat16EEEvlPKT_iiiiiiiiiiiiiiiiiiPS4_ ; -- Begin function _ZN2at6native14vol2col_kernelIN3c108BFloat16EEEvlPKT_iiiiiiiiiiiiiiiiiiPS4_
	.globl	_ZN2at6native14vol2col_kernelIN3c108BFloat16EEEvlPKT_iiiiiiiiiiiiiiiiiiPS4_
	.p2align	8
	.type	_ZN2at6native14vol2col_kernelIN3c108BFloat16EEEvlPKT_iiiiiiiiiiiiiiiiiiPS4_,@function
_ZN2at6native14vol2col_kernelIN3c108BFloat16EEEvlPKT_iiiiiiiiiiiiiiiiiiPS4_: ; @_ZN2at6native14vol2col_kernelIN3c108BFloat16EEEvlPKT_iiiiiiiiiiiiiiiiiiPS4_
; %bb.0:
	s_clause 0x1
	s_load_b32 s2, s[0:1], 0x6c
	s_load_b128 s[20:23], s[0:1], 0x0
	s_bfe_u32 s3, ttmp6, 0x4000c
	v_mov_b32_e32 v2, 0
	s_add_co_i32 s3, s3, 1
	s_and_b32 s4, ttmp6, 15
	s_mul_i32 s3, ttmp9, s3
	s_getreg_b32 s5, hwreg(HW_REG_IB_STS2, 6, 4)
	v_mov_b32_e32 v1, v2
	s_add_co_i32 s4, s4, s3
	s_mov_b32 s29, 0
	s_wait_kmcnt 0x0
	s_and_b32 s2, s2, 0xffff
	s_cmp_eq_u32 s5, 0
	s_cselect_b32 s3, ttmp9, s4
	s_delay_alu instid0(SALU_CYCLE_1) | instskip(SKIP_1) | instid1(VALU_DEP_1)
	v_mad_nc_u64_u32 v[0:1], s2, s3, v[0:1]
	s_mov_b32 s3, exec_lo
	v_cmpx_gt_i64_e64 s[20:21], v[0:1]
	s_cbranch_execz .LBB12_26
; %bb.1:
	s_clause 0x1
	s_load_b512 s[4:19], s[0:1], 0x10
	s_load_b128 s[24:27], s[0:1], 0x50
	s_wait_xcnt 0x0
	s_add_nc_u64 s[0:1], s[0:1], 0x60
	v_mov_b64_e32 v[4:5], s[22:23]
	s_load_b32 s3, s[0:1], 0x0
	s_mov_b32 s56, 0
	s_wait_kmcnt 0x0
	s_ashr_i32 s1, s7, 31
	s_mov_b32 s30, s25
	s_mov_b32 s0, s7
	v_cvt_f32_u32_e32 v3, s30
	s_ashr_i32 s47, s8, 31
	s_mov_b32 s46, s8
	s_ashr_i32 s49, s9, 31
	s_mov_b32 s48, s9
	v_rcp_iflag_f32_e32 v3, v3
	s_mul_u64 s[0:1], s[46:47], s[0:1]
	s_ashr_i32 s31, s25, 31
	s_ashr_i32 s35, s24, 31
	;; [unrolled: 1-line block ×4, first 2 shown]
	s_mov_b32 s38, s13
	s_ashr_i32 s41, s10, 31
	s_mov_b32 s40, s10
	s_ashr_i32 s43, s14, 31
	;; [unrolled: 2-line block ×5, first 2 shown]
	s_mul_u64 s[14:15], s[0:1], s[48:49]
	s_ashr_i32 s47, s4, 31
	s_ashr_i32 s49, s5, 31
	;; [unrolled: 1-line block ×3, first 2 shown]
	s_cmp_gt_i32 s7, 0
	v_nop
	v_mul_f32_e32 v3, 0x4f7ffffe, v3
	s_mul_i32 s28, s24, s19
	s_mov_b32 s36, s19
	s_cselect_b32 s19, -1, 0
	s_cmp_gt_i32 s8, 0
	v_mov_b64_e32 v[6:7], s[26:27]
	s_cselect_b32 s33, -1, 0
	s_cmp_gt_i32 s9, 0
	s_mul_i32 s0, s28, s25
	v_cvt_u32_f32_e32 v14, v3
	s_cselect_b32 s54, -1, 0
	s_ashr_i32 s1, s0, 31
	s_mul_i32 s55, s16, s6
	s_mov_b32 s34, s24
	s_mov_b32 s46, s4
	;; [unrolled: 1-line block ×4, first 2 shown]
	s_mul_i32 s24, s3, s2
	s_mov_b32 s25, s29
	s_lshl_b64 s[52:53], s[0:1], 1
	s_mul_i32 s55, s55, s5
	s_mov_b64 s[4:5], 0xffffffff
	s_mul_i32 s6, s17, s6
	s_ashr_i32 s22, s31, 31
	s_branch .LBB12_3
.LBB12_2:                               ;   in Loop: Header=BB12_3 Depth=1
	v_add_nc_u64_e32 v[0:1], s[24:25], v[0:1]
	s_delay_alu instid0(VALU_DEP_1) | instskip(SKIP_1) | instid1(SALU_CYCLE_1)
	v_cmp_le_i64_e32 vcc_lo, s[20:21], v[0:1]
	s_or_b32 s56, vcc_lo, s56
	s_and_not1_b32 exec_lo, exec_lo, s56
	s_cbranch_execz .LBB12_26
.LBB12_3:                               ; =>This Loop Header: Depth=1
                                        ;     Child Loop BB12_18 Depth 2
                                        ;       Child Loop BB12_21 Depth 3
                                        ;         Child Loop BB12_24 Depth 4
	v_or_b32_e32 v3, s31, v1
                                        ; implicit-def: $vgpr8_vgpr9
	s_mov_b32 s0, exec_lo
	s_delay_alu instid0(VALU_DEP_1)
	v_cmpx_ne_u64_e32 0, v[2:3]
	s_xor_b32 s1, exec_lo, s0
	s_cbranch_execz .LBB12_5
; %bb.4:                                ;   in Loop: Header=BB12_3 Depth=1
	s_mov_b32 s23, s22
	v_dual_mov_b32 v13, v2 :: v_dual_ashrrev_i32 v8, 31, v1
	s_add_nc_u64 s[2:3], s[30:31], s[22:23]
	v_mov_b32_e32 v23, v2
	s_xor_b64 s[2:3], s[2:3], s[22:23]
	s_delay_alu instid0(VALU_DEP_2) | instskip(SKIP_3) | instid1(VALU_DEP_1)
	v_mov_b32_e32 v9, v8
	s_cvt_f32_u32 s0, s2
	s_cvt_f32_u32 s23, s3
	s_sub_nc_u64 s[58:59], 0, s[2:3]
	v_add_nc_u64_e32 v[10:11], v[0:1], v[8:9]
	s_delay_alu instid0(SALU_CYCLE_1) | instskip(SKIP_1) | instid1(SALU_CYCLE_2)
	s_fmamk_f32 s0, s23, 0x4f800000, s0
	v_mov_b32_e32 v19, v2
	v_s_rcp_f32 s0, s0
	s_delay_alu instid0(VALU_DEP_2) | instskip(NEXT) | instid1(VALU_DEP_3)
	v_xor_b32_e32 v12, v10, v8
	v_xor_b32_e32 v18, v11, v8
	;; [unrolled: 1-line block ×3, first 2 shown]
	s_delay_alu instid0(TRANS32_DEP_1) | instskip(NEXT) | instid1(SALU_CYCLE_3)
	s_mul_f32 s0, s0, 0x5f7ffffc
	s_mul_f32 s23, s0, 0x2f800000
	s_delay_alu instid0(SALU_CYCLE_3) | instskip(NEXT) | instid1(SALU_CYCLE_3)
	s_trunc_f32 s23, s23
	s_fmamk_f32 s0, s23, 0xcf800000, s0
	s_cvt_u32_f32 s27, s23
	s_delay_alu instid0(SALU_CYCLE_2) | instskip(NEXT) | instid1(SALU_CYCLE_3)
	s_cvt_u32_f32 s26, s0
	s_mul_u64 s[60:61], s[58:59], s[26:27]
	s_delay_alu instid0(SALU_CYCLE_1)
	s_mul_hi_u32 s63, s26, s61
	s_mul_i32 s62, s26, s61
	s_mul_hi_u32 s28, s26, s60
	s_mul_i32 s23, s27, s60
	s_add_nc_u64 s[62:63], s[28:29], s[62:63]
	s_mul_hi_u32 s0, s27, s60
	s_mul_hi_u32 s57, s27, s61
	s_add_co_u32 s23, s62, s23
	s_add_co_ci_u32 s28, s63, s0
	s_mul_i32 s60, s27, s61
	s_add_co_ci_u32 s61, s57, 0
	s_delay_alu instid0(SALU_CYCLE_1) | instskip(NEXT) | instid1(SALU_CYCLE_1)
	s_add_nc_u64 s[60:61], s[28:29], s[60:61]
	s_add_co_u32 s26, s26, s60
	s_cselect_b32 s0, -1, 0
	s_delay_alu instid0(SALU_CYCLE_1) | instskip(SKIP_1) | instid1(SALU_CYCLE_1)
	s_cmp_lg_u32 s0, 0
	s_add_co_ci_u32 s27, s27, s61
	s_mul_u64 s[58:59], s[58:59], s[26:27]
	s_delay_alu instid0(SALU_CYCLE_1)
	s_mul_hi_u32 s61, s26, s59
	s_mul_i32 s60, s26, s59
	s_mul_hi_u32 s28, s26, s58
	s_mul_i32 s23, s27, s58
	s_add_nc_u64 s[60:61], s[28:29], s[60:61]
	s_mul_hi_u32 s0, s27, s58
	s_mul_hi_u32 s57, s27, s59
	s_add_co_u32 s23, s60, s23
	s_add_co_ci_u32 s28, s61, s0
	s_mul_i32 s58, s27, s59
	s_add_co_ci_u32 s59, s57, 0
	s_delay_alu instid0(SALU_CYCLE_1) | instskip(NEXT) | instid1(SALU_CYCLE_1)
	s_add_nc_u64 s[58:59], s[28:29], s[58:59]
	s_add_co_u32 s0, s26, s58
	s_cselect_b32 s23, -1, 0
	v_mul_hi_u32 v22, v12, s0
	s_cmp_lg_u32 s23, 0
	s_add_co_ci_u32 s28, s27, s59
	s_and_b64 s[26:27], s[0:1], s[4:5]
	v_mul_u64_e32 v[16:17], s[28:29], v[12:13]
	v_mul_u64_e32 v[10:11], s[26:27], v[18:19]
	;; [unrolled: 1-line block ×3, first 2 shown]
	s_delay_alu instid0(VALU_DEP_3) | instskip(NEXT) | instid1(VALU_DEP_1)
	v_add_nc_u64_e32 v[16:17], v[22:23], v[16:17]
	v_add_co_u32 v3, vcc_lo, v16, v10
	s_delay_alu instid0(VALU_DEP_2) | instskip(NEXT) | instid1(VALU_DEP_4)
	v_add_co_ci_u32_e32 v22, vcc_lo, v17, v11, vcc_lo
	v_add_co_ci_u32_e32 v21, vcc_lo, 0, v21, vcc_lo
	s_delay_alu instid0(VALU_DEP_1) | instskip(NEXT) | instid1(VALU_DEP_1)
	v_add_nc_u64_e32 v[10:11], v[22:23], v[20:21]
	v_mul_u64_e32 v[16:17], s[2:3], v[10:11]
	s_delay_alu instid0(VALU_DEP_1) | instskip(NEXT) | instid1(VALU_DEP_2)
	v_sub_nc_u32_e32 v3, v18, v17
	v_sub_co_u32 v9, vcc_lo, v12, v16
	s_delay_alu instid0(VALU_DEP_1) | instskip(NEXT) | instid1(VALU_DEP_3)
	v_sub_co_ci_u32_e64 v15, null, v18, v17, vcc_lo
	v_subrev_co_ci_u32_e64 v3, null, s3, v3, vcc_lo
	s_delay_alu instid0(VALU_DEP_3) | instskip(SKIP_1) | instid1(VALU_DEP_3)
	v_sub_co_u32 v12, s0, v9, s2
	v_add_nc_u64_e32 v[16:17], 1, v[10:11]
	v_subrev_co_ci_u32_e64 v3, null, 0, v3, s0
	s_delay_alu instid0(VALU_DEP_3) | instskip(SKIP_1) | instid1(VALU_DEP_3)
	v_cmp_le_u32_e32 vcc_lo, s2, v12
	v_cndmask_b32_e64 v12, 0, -1, vcc_lo
	v_cmp_le_u32_e32 vcc_lo, s3, v3
	v_cndmask_b32_e64 v13, 0, -1, vcc_lo
	;; [unrolled: 2-line block ×4, first 2 shown]
	v_cmp_eq_u32_e32 vcc_lo, s3, v3
	v_cndmask_b32_e32 v3, v13, v12, vcc_lo
	v_cmp_eq_u32_e32 vcc_lo, s3, v15
	v_add_nc_u64_e32 v[12:13], 2, v[10:11]
	v_cndmask_b32_e32 v9, v18, v9, vcc_lo
	s_delay_alu instid0(VALU_DEP_4) | instskip(NEXT) | instid1(VALU_DEP_2)
	v_cmp_ne_u32_e32 vcc_lo, 0, v3
	v_cmp_ne_u32_e64 s0, 0, v9
	s_delay_alu instid0(VALU_DEP_4) | instskip(NEXT) | instid1(VALU_DEP_1)
	v_dual_cndmask_b32 v3, v17, v13, vcc_lo :: v_dual_cndmask_b32 v9, v16, v12, vcc_lo
	v_dual_cndmask_b32 v10, v10, v9, s0 :: v_dual_mov_b32 v9, v8
	s_delay_alu instid0(VALU_DEP_1) | instskip(NEXT) | instid1(VALU_DEP_1)
	v_dual_cndmask_b32 v3, v11, v3, s0 :: v_dual_bitop2_b32 v10, v10, v8 bitop3:0x14
	v_xor_b32_e32 v11, v3, v8
	s_delay_alu instid0(VALU_DEP_1)
	v_sub_nc_u64_e32 v[8:9], v[10:11], v[8:9]
.LBB12_5:                               ;   in Loop: Header=BB12_3 Depth=1
	s_and_not1_saveexec_b32 s0, s1
	s_cbranch_execz .LBB12_7
; %bb.6:                                ;   in Loop: Header=BB12_3 Depth=1
	s_sub_co_i32 s1, 0, s30
	s_delay_alu instid0(SALU_CYCLE_1) | instskip(NEXT) | instid1(VALU_DEP_1)
	v_mul_lo_u32 v3, s1, v14
	v_mul_hi_u32 v3, v14, v3
	s_delay_alu instid0(VALU_DEP_1) | instskip(NEXT) | instid1(VALU_DEP_1)
	v_add_nc_u32_e32 v3, v14, v3
	v_mul_hi_u32 v3, v0, v3
	s_delay_alu instid0(VALU_DEP_1) | instskip(NEXT) | instid1(VALU_DEP_1)
	v_mul_lo_u32 v8, v3, s30
	v_sub_nc_u32_e32 v8, v0, v8
	s_delay_alu instid0(VALU_DEP_1) | instskip(SKIP_1) | instid1(VALU_DEP_2)
	v_subrev_nc_u32_e32 v10, s30, v8
	v_cmp_le_u32_e32 vcc_lo, s30, v8
	v_dual_cndmask_b32 v8, v8, v10 :: v_dual_add_nc_u32 v9, 1, v3
	s_delay_alu instid0(VALU_DEP_1) | instskip(NEXT) | instid1(VALU_DEP_2)
	v_cndmask_b32_e32 v3, v3, v9, vcc_lo
	v_cmp_le_u32_e32 vcc_lo, s30, v8
	s_delay_alu instid0(VALU_DEP_2) | instskip(NEXT) | instid1(VALU_DEP_1)
	v_add_nc_u32_e32 v9, 1, v3
	v_dual_cndmask_b32 v8, v3, v9 :: v_dual_mov_b32 v9, v2
.LBB12_7:                               ;   in Loop: Header=BB12_3 Depth=1
	s_or_b32 exec_lo, exec_lo, s0
	s_delay_alu instid0(VALU_DEP_1) | instskip(SKIP_1) | instid1(VALU_DEP_1)
	v_or_b32_e32 v3, s35, v9
                                        ; implicit-def: $vgpr10_vgpr11
	s_mov_b32 s0, exec_lo
	v_cmpx_ne_u64_e32 0, v[2:3]
	s_xor_b32 s1, exec_lo, s0
	s_cbranch_execz .LBB12_9
; %bb.8:                                ;   in Loop: Header=BB12_3 Depth=1
	s_ashr_i32 s2, s35, 31
	v_dual_mov_b32 v17, v2 :: v_dual_ashrrev_i32 v10, 31, v9
	s_mov_b32 s3, s2
	s_delay_alu instid0(SALU_CYCLE_1) | instskip(NEXT) | instid1(VALU_DEP_1)
	s_add_nc_u64 s[26:27], s[34:35], s[2:3]
	v_mov_b32_e32 v11, v10
	s_xor_b64 s[26:27], s[26:27], s[2:3]
	s_delay_alu instid0(SALU_CYCLE_1)
	s_cvt_f32_u32 s0, s26
	s_cvt_f32_u32 s3, s27
	s_sub_nc_u64 s[60:61], 0, s[26:27]
	v_add_nc_u64_e32 v[12:13], v[8:9], v[10:11]
	v_mov_b32_e32 v21, v2
	s_fmamk_f32 s0, s3, 0x4f800000, s0
	s_delay_alu instid0(SALU_CYCLE_3) | instskip(NEXT) | instid1(VALU_DEP_2)
	v_s_rcp_f32 s0, s0
	v_xor_b32_e32 v16, v12, v10
	s_delay_alu instid0(VALU_DEP_3) | instskip(NEXT) | instid1(TRANS32_DEP_1)
	v_dual_mov_b32 v25, v2 :: v_dual_bitop2_b32 v20, v13, v10 bitop3:0x14
	s_mul_f32 s0, s0, 0x5f7ffffc
	s_delay_alu instid0(SALU_CYCLE_3) | instskip(NEXT) | instid1(SALU_CYCLE_3)
	s_mul_f32 s3, s0, 0x2f800000
	s_trunc_f32 s3, s3
	s_delay_alu instid0(SALU_CYCLE_3) | instskip(SKIP_1) | instid1(SALU_CYCLE_2)
	s_fmamk_f32 s0, s3, 0xcf800000, s0
	s_cvt_u32_f32 s59, s3
	s_cvt_u32_f32 s58, s0
	s_delay_alu instid0(SALU_CYCLE_3) | instskip(NEXT) | instid1(SALU_CYCLE_1)
	s_mul_u64 s[62:63], s[60:61], s[58:59]
	s_mul_hi_u32 s65, s58, s63
	s_mul_i32 s64, s58, s63
	s_mul_hi_u32 s28, s58, s62
	s_mul_i32 s3, s59, s62
	s_add_nc_u64 s[64:65], s[28:29], s[64:65]
	s_mul_hi_u32 s0, s59, s62
	s_mul_hi_u32 s23, s59, s63
	s_add_co_u32 s3, s64, s3
	s_add_co_ci_u32 s28, s65, s0
	s_mul_i32 s62, s59, s63
	s_add_co_ci_u32 s63, s23, 0
	s_delay_alu instid0(SALU_CYCLE_1) | instskip(NEXT) | instid1(SALU_CYCLE_1)
	s_add_nc_u64 s[62:63], s[28:29], s[62:63]
	s_add_co_u32 s58, s58, s62
	s_cselect_b32 s0, -1, 0
	s_delay_alu instid0(SALU_CYCLE_1) | instskip(SKIP_1) | instid1(SALU_CYCLE_1)
	s_cmp_lg_u32 s0, 0
	s_add_co_ci_u32 s59, s59, s63
	s_mul_u64 s[60:61], s[60:61], s[58:59]
	s_delay_alu instid0(SALU_CYCLE_1)
	s_mul_hi_u32 s63, s58, s61
	s_mul_i32 s62, s58, s61
	s_mul_hi_u32 s28, s58, s60
	s_mul_i32 s3, s59, s60
	s_add_nc_u64 s[62:63], s[28:29], s[62:63]
	s_mul_hi_u32 s0, s59, s60
	s_mul_hi_u32 s23, s59, s61
	s_add_co_u32 s3, s62, s3
	s_add_co_ci_u32 s28, s63, s0
	s_mul_i32 s60, s59, s61
	s_add_co_ci_u32 s61, s23, 0
	s_delay_alu instid0(SALU_CYCLE_1) | instskip(NEXT) | instid1(SALU_CYCLE_1)
	s_add_nc_u64 s[60:61], s[28:29], s[60:61]
	s_add_co_u32 s0, s58, s60
	s_cselect_b32 s3, -1, 0
	v_mul_hi_u32 v24, v16, s0
	s_cmp_lg_u32 s3, 0
	s_add_co_ci_u32 s28, s59, s61
	s_and_b64 s[58:59], s[0:1], s[4:5]
	v_mul_u64_e32 v[18:19], s[28:29], v[16:17]
	v_mul_u64_e32 v[12:13], s[58:59], v[20:21]
	;; [unrolled: 1-line block ×3, first 2 shown]
	s_delay_alu instid0(VALU_DEP_3) | instskip(NEXT) | instid1(VALU_DEP_1)
	v_add_nc_u64_e32 v[18:19], v[24:25], v[18:19]
	v_add_co_u32 v3, vcc_lo, v18, v12
	s_delay_alu instid0(VALU_DEP_2) | instskip(NEXT) | instid1(VALU_DEP_4)
	v_add_co_ci_u32_e32 v24, vcc_lo, v19, v13, vcc_lo
	v_add_co_ci_u32_e32 v23, vcc_lo, 0, v23, vcc_lo
	s_delay_alu instid0(VALU_DEP_1) | instskip(NEXT) | instid1(VALU_DEP_1)
	v_add_nc_u64_e32 v[12:13], v[24:25], v[22:23]
	v_mul_u64_e32 v[18:19], s[26:27], v[12:13]
	s_delay_alu instid0(VALU_DEP_1) | instskip(NEXT) | instid1(VALU_DEP_2)
	v_sub_nc_u32_e32 v3, v20, v19
	v_sub_co_u32 v11, vcc_lo, v16, v18
	s_delay_alu instid0(VALU_DEP_1) | instskip(NEXT) | instid1(VALU_DEP_3)
	v_sub_co_ci_u32_e64 v20, null, v20, v19, vcc_lo
	v_subrev_co_ci_u32_e64 v3, null, s27, v3, vcc_lo
	s_delay_alu instid0(VALU_DEP_3) | instskip(SKIP_1) | instid1(VALU_DEP_3)
	v_sub_co_u32 v15, s0, v11, s26
	v_add_nc_u64_e32 v[18:19], 1, v[12:13]
	v_subrev_co_ci_u32_e64 v3, null, 0, v3, s0
	s_delay_alu instid0(VALU_DEP_3) | instskip(SKIP_1) | instid1(VALU_DEP_3)
	v_cmp_le_u32_e32 vcc_lo, s26, v15
	v_cndmask_b32_e64 v15, 0, -1, vcc_lo
	v_cmp_le_u32_e32 vcc_lo, s27, v3
	v_cndmask_b32_e64 v16, 0, -1, vcc_lo
	;; [unrolled: 2-line block ×4, first 2 shown]
	v_cmp_eq_u32_e32 vcc_lo, s27, v3
	v_cndmask_b32_e32 v3, v16, v15, vcc_lo
	v_cmp_eq_u32_e32 vcc_lo, s27, v20
	v_add_nc_u64_e32 v[16:17], 2, v[12:13]
	v_cndmask_b32_e32 v11, v21, v11, vcc_lo
	s_delay_alu instid0(VALU_DEP_4) | instskip(NEXT) | instid1(VALU_DEP_3)
	v_cmp_ne_u32_e32 vcc_lo, 0, v3
	v_cndmask_b32_e32 v3, v19, v17, vcc_lo
	s_delay_alu instid0(VALU_DEP_3) | instskip(SKIP_1) | instid1(VALU_DEP_2)
	v_cmp_ne_u32_e64 s0, 0, v11
	v_dual_cndmask_b32 v11, v18, v16, vcc_lo :: v_dual_bitop2_b32 v10, s2, v10 bitop3:0x14
	v_cndmask_b32_e64 v3, v13, v3, s0
	s_delay_alu instid0(VALU_DEP_2) | instskip(NEXT) | instid1(VALU_DEP_2)
	v_dual_cndmask_b32 v12, v12, v11, s0 :: v_dual_mov_b32 v11, v10
	v_xor_b32_e32 v13, v3, v10
	s_delay_alu instid0(VALU_DEP_2) | instskip(NEXT) | instid1(VALU_DEP_1)
	v_xor_b32_e32 v12, v12, v10
	v_sub_nc_u64_e32 v[10:11], v[12:13], v[10:11]
.LBB12_9:                               ;   in Loop: Header=BB12_3 Depth=1
	s_and_not1_saveexec_b32 s0, s1
	s_cbranch_execz .LBB12_11
; %bb.10:                               ;   in Loop: Header=BB12_3 Depth=1
	v_cvt_f32_u32_e32 v3, s34
	s_sub_co_i32 s1, 0, s34
	s_delay_alu instid0(VALU_DEP_1) | instskip(SKIP_1) | instid1(TRANS32_DEP_1)
	v_rcp_iflag_f32_e32 v3, v3
	v_nop
	v_mul_f32_e32 v3, 0x4f7ffffe, v3
	s_delay_alu instid0(VALU_DEP_1) | instskip(NEXT) | instid1(VALU_DEP_1)
	v_cvt_u32_f32_e32 v3, v3
	v_mul_lo_u32 v10, s1, v3
	s_delay_alu instid0(VALU_DEP_1) | instskip(NEXT) | instid1(VALU_DEP_1)
	v_mul_hi_u32 v10, v3, v10
	v_add_nc_u32_e32 v3, v3, v10
	s_delay_alu instid0(VALU_DEP_1) | instskip(NEXT) | instid1(VALU_DEP_1)
	v_mul_hi_u32 v3, v8, v3
	v_mul_lo_u32 v10, v3, s34
	s_delay_alu instid0(VALU_DEP_1) | instskip(NEXT) | instid1(VALU_DEP_1)
	v_dual_add_nc_u32 v11, 1, v3 :: v_dual_sub_nc_u32 v10, v8, v10
	v_subrev_nc_u32_e32 v12, s34, v10
	v_cmp_le_u32_e32 vcc_lo, s34, v10
	s_delay_alu instid0(VALU_DEP_2) | instskip(NEXT) | instid1(VALU_DEP_1)
	v_dual_cndmask_b32 v10, v10, v12 :: v_dual_cndmask_b32 v3, v3, v11
	v_cmp_le_u32_e32 vcc_lo, s34, v10
	s_delay_alu instid0(VALU_DEP_2) | instskip(NEXT) | instid1(VALU_DEP_1)
	v_add_nc_u32_e32 v11, 1, v3
	v_dual_cndmask_b32 v10, v3, v11 :: v_dual_mov_b32 v11, v2
.LBB12_11:                              ;   in Loop: Header=BB12_3 Depth=1
	s_or_b32 exec_lo, exec_lo, s0
	s_delay_alu instid0(VALU_DEP_1) | instskip(SKIP_1) | instid1(VALU_DEP_1)
	v_or_b32_e32 v3, s37, v11
                                        ; implicit-def: $vgpr12_vgpr13
	s_mov_b32 s0, exec_lo
	v_cmpx_ne_u64_e32 0, v[2:3]
	s_xor_b32 s1, exec_lo, s0
	s_cbranch_execz .LBB12_13
; %bb.12:                               ;   in Loop: Header=BB12_3 Depth=1
	s_ashr_i32 s2, s37, 31
	v_dual_mov_b32 v19, v2 :: v_dual_ashrrev_i32 v12, 31, v11
	s_mov_b32 s3, s2
	v_mov_b32_e32 v23, v2
	s_add_nc_u64 s[26:27], s[36:37], s[2:3]
	s_delay_alu instid0(VALU_DEP_2)
	v_mov_b32_e32 v13, v12
	s_xor_b64 s[26:27], s[26:27], s[2:3]
	v_mov_b32_e32 v27, v2
	s_cvt_f32_u32 s0, s26
	s_cvt_f32_u32 s3, s27
	s_sub_nc_u64 s[60:61], 0, s[26:27]
	v_add_nc_u64_e32 v[16:17], v[10:11], v[12:13]
	s_delay_alu instid0(SALU_CYCLE_1) | instskip(NEXT) | instid1(SALU_CYCLE_3)
	s_fmamk_f32 s0, s3, 0x4f800000, s0
	v_s_rcp_f32 s0, s0
	s_delay_alu instid0(VALU_DEP_1) | instskip(NEXT) | instid1(VALU_DEP_2)
	v_xor_b32_e32 v18, v16, v12
	v_xor_b32_e32 v22, v17, v12
	s_delay_alu instid0(TRANS32_DEP_1) | instskip(NEXT) | instid1(SALU_CYCLE_3)
	s_mul_f32 s0, s0, 0x5f7ffffc
	s_mul_f32 s3, s0, 0x2f800000
	s_delay_alu instid0(SALU_CYCLE_3) | instskip(NEXT) | instid1(SALU_CYCLE_3)
	s_trunc_f32 s3, s3
	s_fmamk_f32 s0, s3, 0xcf800000, s0
	s_cvt_u32_f32 s59, s3
	s_delay_alu instid0(SALU_CYCLE_2) | instskip(NEXT) | instid1(SALU_CYCLE_3)
	s_cvt_u32_f32 s58, s0
	s_mul_u64 s[62:63], s[60:61], s[58:59]
	s_delay_alu instid0(SALU_CYCLE_1)
	s_mul_hi_u32 s65, s58, s63
	s_mul_i32 s64, s58, s63
	s_mul_hi_u32 s28, s58, s62
	s_mul_i32 s3, s59, s62
	s_add_nc_u64 s[64:65], s[28:29], s[64:65]
	s_mul_hi_u32 s0, s59, s62
	s_mul_hi_u32 s23, s59, s63
	s_add_co_u32 s3, s64, s3
	s_add_co_ci_u32 s28, s65, s0
	s_mul_i32 s62, s59, s63
	s_add_co_ci_u32 s63, s23, 0
	s_delay_alu instid0(SALU_CYCLE_1) | instskip(NEXT) | instid1(SALU_CYCLE_1)
	s_add_nc_u64 s[62:63], s[28:29], s[62:63]
	s_add_co_u32 s58, s58, s62
	s_cselect_b32 s0, -1, 0
	s_delay_alu instid0(SALU_CYCLE_1) | instskip(SKIP_1) | instid1(SALU_CYCLE_1)
	s_cmp_lg_u32 s0, 0
	s_add_co_ci_u32 s59, s59, s63
	s_mul_u64 s[60:61], s[60:61], s[58:59]
	s_delay_alu instid0(SALU_CYCLE_1)
	s_mul_hi_u32 s63, s58, s61
	s_mul_i32 s62, s58, s61
	s_mul_hi_u32 s28, s58, s60
	s_mul_i32 s3, s59, s60
	s_add_nc_u64 s[62:63], s[28:29], s[62:63]
	s_mul_hi_u32 s0, s59, s60
	s_mul_hi_u32 s23, s59, s61
	s_add_co_u32 s3, s62, s3
	s_add_co_ci_u32 s28, s63, s0
	s_mul_i32 s60, s59, s61
	s_add_co_ci_u32 s61, s23, 0
	s_delay_alu instid0(SALU_CYCLE_1) | instskip(NEXT) | instid1(SALU_CYCLE_1)
	s_add_nc_u64 s[60:61], s[28:29], s[60:61]
	s_add_co_u32 s0, s58, s60
	s_cselect_b32 s3, -1, 0
	v_mul_hi_u32 v26, v18, s0
	s_cmp_lg_u32 s3, 0
	s_add_co_ci_u32 s28, s59, s61
	s_and_b64 s[58:59], s[0:1], s[4:5]
	v_mul_u64_e32 v[20:21], s[28:29], v[18:19]
	v_mul_u64_e32 v[16:17], s[58:59], v[22:23]
	;; [unrolled: 1-line block ×3, first 2 shown]
	s_delay_alu instid0(VALU_DEP_3) | instskip(NEXT) | instid1(VALU_DEP_1)
	v_add_nc_u64_e32 v[20:21], v[26:27], v[20:21]
	v_add_co_u32 v3, vcc_lo, v20, v16
	s_delay_alu instid0(VALU_DEP_2) | instskip(NEXT) | instid1(VALU_DEP_4)
	v_add_co_ci_u32_e32 v26, vcc_lo, v21, v17, vcc_lo
	v_add_co_ci_u32_e32 v25, vcc_lo, 0, v25, vcc_lo
	s_delay_alu instid0(VALU_DEP_1) | instskip(NEXT) | instid1(VALU_DEP_1)
	v_add_nc_u64_e32 v[16:17], v[26:27], v[24:25]
	v_mul_u64_e32 v[20:21], s[26:27], v[16:17]
	s_delay_alu instid0(VALU_DEP_1) | instskip(NEXT) | instid1(VALU_DEP_2)
	v_sub_nc_u32_e32 v3, v22, v21
	v_sub_co_u32 v13, vcc_lo, v18, v20
	s_delay_alu instid0(VALU_DEP_1) | instskip(NEXT) | instid1(VALU_DEP_3)
	v_sub_co_ci_u32_e64 v22, null, v22, v21, vcc_lo
	v_subrev_co_ci_u32_e64 v3, null, s27, v3, vcc_lo
	s_delay_alu instid0(VALU_DEP_3) | instskip(SKIP_1) | instid1(VALU_DEP_3)
	v_sub_co_u32 v15, s0, v13, s26
	v_add_nc_u64_e32 v[20:21], 1, v[16:17]
	v_subrev_co_ci_u32_e64 v3, null, 0, v3, s0
	s_delay_alu instid0(VALU_DEP_3) | instskip(SKIP_1) | instid1(VALU_DEP_3)
	v_cmp_le_u32_e32 vcc_lo, s26, v15
	v_cndmask_b32_e64 v15, 0, -1, vcc_lo
	v_cmp_le_u32_e32 vcc_lo, s27, v3
	v_cndmask_b32_e64 v18, 0, -1, vcc_lo
	;; [unrolled: 2-line block ×4, first 2 shown]
	v_cmp_eq_u32_e32 vcc_lo, s27, v3
	v_cndmask_b32_e32 v3, v18, v15, vcc_lo
	v_cmp_eq_u32_e32 vcc_lo, s27, v22
	v_add_nc_u64_e32 v[18:19], 2, v[16:17]
	v_cndmask_b32_e32 v13, v23, v13, vcc_lo
	s_delay_alu instid0(VALU_DEP_4) | instskip(NEXT) | instid1(VALU_DEP_3)
	v_cmp_ne_u32_e32 vcc_lo, 0, v3
	v_cndmask_b32_e32 v3, v21, v19, vcc_lo
	s_delay_alu instid0(VALU_DEP_3) | instskip(SKIP_1) | instid1(VALU_DEP_1)
	v_cmp_ne_u32_e64 s0, 0, v13
	v_dual_cndmask_b32 v13, v20, v18, vcc_lo :: v_dual_bitop2_b32 v12, s2, v12 bitop3:0x14
	v_dual_cndmask_b32 v3, v17, v3, s0 :: v_dual_cndmask_b32 v15, v16, v13, s0
	s_delay_alu instid0(VALU_DEP_1) | instskip(NEXT) | instid1(VALU_DEP_2)
	v_dual_mov_b32 v13, v12 :: v_dual_bitop2_b32 v17, v3, v12 bitop3:0x14
	v_xor_b32_e32 v16, v15, v12
	s_delay_alu instid0(VALU_DEP_1)
	v_sub_nc_u64_e32 v[12:13], v[16:17], v[12:13]
.LBB12_13:                              ;   in Loop: Header=BB12_3 Depth=1
	s_and_not1_saveexec_b32 s0, s1
	s_cbranch_execz .LBB12_15
; %bb.14:                               ;   in Loop: Header=BB12_3 Depth=1
	v_cvt_f32_u32_e32 v3, s36
	s_sub_co_i32 s1, 0, s36
	s_delay_alu instid0(VALU_DEP_1) | instskip(SKIP_1) | instid1(TRANS32_DEP_1)
	v_rcp_iflag_f32_e32 v3, v3
	v_nop
	v_mul_f32_e32 v3, 0x4f7ffffe, v3
	s_delay_alu instid0(VALU_DEP_1) | instskip(NEXT) | instid1(VALU_DEP_1)
	v_cvt_u32_f32_e32 v3, v3
	v_mul_lo_u32 v12, s1, v3
	s_delay_alu instid0(VALU_DEP_1) | instskip(NEXT) | instid1(VALU_DEP_1)
	v_mul_hi_u32 v12, v3, v12
	v_add_nc_u32_e32 v3, v3, v12
	s_delay_alu instid0(VALU_DEP_1) | instskip(NEXT) | instid1(VALU_DEP_1)
	v_mul_hi_u32 v3, v10, v3
	v_mul_lo_u32 v12, v3, s36
	s_delay_alu instid0(VALU_DEP_1) | instskip(NEXT) | instid1(VALU_DEP_1)
	v_dual_add_nc_u32 v13, 1, v3 :: v_dual_sub_nc_u32 v12, v10, v12
	v_subrev_nc_u32_e32 v15, s36, v12
	v_cmp_le_u32_e32 vcc_lo, s36, v12
	s_delay_alu instid0(VALU_DEP_2) | instskip(NEXT) | instid1(VALU_DEP_1)
	v_dual_cndmask_b32 v12, v12, v15 :: v_dual_cndmask_b32 v3, v3, v13
	v_cmp_le_u32_e32 vcc_lo, s36, v12
	s_delay_alu instid0(VALU_DEP_2) | instskip(NEXT) | instid1(VALU_DEP_1)
	v_add_nc_u32_e32 v13, 1, v3
	v_dual_cndmask_b32 v12, v3, v13 :: v_dual_mov_b32 v13, v2
.LBB12_15:                              ;   in Loop: Header=BB12_3 Depth=1
	s_or_b32 exec_lo, exec_lo, s0
	s_delay_alu instid0(VALU_DEP_1) | instskip(SKIP_3) | instid1(VALU_DEP_3)
	v_mul_u64_e32 v[16:17], s[36:37], v[12:13]
	v_mul_u64_e32 v[18:19], s[34:35], v[10:11]
	;; [unrolled: 1-line block ×3, first 2 shown]
	s_and_not1_b32 vcc_lo, exec_lo, s19
	v_sub_nc_u64_e32 v[20:21], v[10:11], v[16:17]
	s_delay_alu instid0(VALU_DEP_3) | instskip(NEXT) | instid1(VALU_DEP_2)
	v_sub_nc_u64_e32 v[18:19], v[8:9], v[18:19]
	v_mul_u64_e32 v[10:11], s[38:39], v[20:21]
	s_delay_alu instid0(VALU_DEP_2) | instskip(SKIP_1) | instid1(VALU_DEP_1)
	v_mul_u64_e32 v[22:23], s[42:43], v[18:19]
	v_mad_nc_u64_u32 v[20:21], v16, s14, v[20:21]
	v_mad_u32 v3, v17, s14, v21
	s_delay_alu instid0(VALU_DEP_2) | instskip(NEXT) | instid1(VALU_DEP_2)
	v_mad_nc_u64_u32 v[18:19], v20, s34, v[18:19]
	v_mad_u32 v3, v16, s15, v3
	v_sub_nc_u64_e32 v[16:17], v[0:1], v[26:27]
	v_sub_nc_u64_e64 v[10:11], v[10:11], s[40:41]
	v_sub_nc_u64_e64 v[8:9], v[22:23], s[44:45]
	s_delay_alu instid0(VALU_DEP_4) | instskip(NEXT) | instid1(VALU_DEP_3)
	v_mad_u32 v3, v3, s34, v19
	v_mad_nc_u64_u32 v[24:25], v12, s46, v[10:11]
	s_delay_alu instid0(VALU_DEP_2) | instskip(SKIP_1) | instid1(VALU_DEP_3)
	v_mad_u32 v19, v20, s35, v3
	v_mul_u64_e32 v[20:21], s[10:11], v[16:17]
	v_mad_u32 v13, v13, s46, v25
	s_delay_alu instid0(VALU_DEP_3) | instskip(NEXT) | instid1(VALU_DEP_2)
	v_mul_u64_e32 v[18:19], s[30:31], v[18:19]
	v_mad_u32 v15, v12, s47, v13
	v_mad_nc_u64_u32 v[12:13], v24, s48, v[8:9]
	s_delay_alu instid0(VALU_DEP_1) | instskip(NEXT) | instid1(VALU_DEP_1)
	v_mad_u32 v13, v15, s48, v13
	v_mad_u32 v13, v24, s49, v13
	v_lshl_add_u64 v[6:7], v[18:19], 1, v[6:7]
	s_delay_alu instid0(VALU_DEP_1) | instskip(NEXT) | instid1(VALU_DEP_3)
	v_lshl_add_u64 v[6:7], v[16:17], 1, v[6:7]
	v_mul_u64_e32 v[22:23], s[50:51], v[12:13]
	v_sub_nc_u64_e64 v[12:13], v[20:21], s[12:13]
	s_delay_alu instid0(VALU_DEP_2) | instskip(NEXT) | instid1(VALU_DEP_1)
	v_lshl_add_u64 v[4:5], v[22:23], 1, v[4:5]
	v_lshl_add_u64 v[4:5], v[12:13], 1, v[4:5]
	s_cbranch_vccnz .LBB12_2
; %bb.16:                               ;   in Loop: Header=BB12_3 Depth=1
	s_mov_b32 s23, 0
	s_mov_b32 s28, 0
	s_branch .LBB12_18
.LBB12_17:                              ;   in Loop: Header=BB12_18 Depth=2
	s_add_co_i32 s28, s28, 1
	s_add_co_i32 s23, s23, s55
	s_cmp_eq_u32 s28, s7
	s_cbranch_scc1 .LBB12_2
.LBB12_18:                              ;   Parent Loop BB12_3 Depth=1
                                        ; =>  This Loop Header: Depth=2
                                        ;       Child Loop BB12_21 Depth 3
                                        ;         Child Loop BB12_24 Depth 4
	s_and_not1_b32 vcc_lo, exec_lo, s33
	s_cbranch_vccnz .LBB12_17
; %bb.19:                               ;   in Loop: Header=BB12_18 Depth=2
	s_mul_i32 s0, s28, s16
	s_mov_b32 s57, 0
	s_ashr_i32 s1, s0, 31
	s_mov_b32 s58, s23
	v_add_nc_u64_e32 v[16:17], s[0:1], v[10:11]
	s_delay_alu instid0(VALU_DEP_1)
	v_cmp_lt_i64_e64 s0, -1, v[16:17]
	v_cmp_gt_i64_e64 s1, s[46:47], v[16:17]
	s_branch .LBB12_21
.LBB12_20:                              ;   in Loop: Header=BB12_21 Depth=3
	s_add_co_i32 s57, s57, 1
	s_add_co_i32 s58, s58, s6
	s_cmp_eq_u32 s57, s8
	s_cbranch_scc1 .LBB12_17
.LBB12_21:                              ;   Parent Loop BB12_3 Depth=1
                                        ;     Parent Loop BB12_18 Depth=2
                                        ; =>    This Loop Header: Depth=3
                                        ;         Child Loop BB12_24 Depth 4
	s_and_not1_b32 vcc_lo, exec_lo, s54
	s_cbranch_vccnz .LBB12_20
; %bb.22:                               ;   in Loop: Header=BB12_21 Depth=3
	s_mul_i32 s2, s57, s17
	s_mov_b32 s26, 0
	s_ashr_i32 s3, s2, 31
	s_mov_b32 s60, s9
	v_add_nc_u64_e32 v[16:17], s[2:3], v[8:9]
	s_delay_alu instid0(VALU_DEP_1)
	v_cmp_lt_i64_e64 s2, -1, v[16:17]
	v_cmp_gt_i64_e32 vcc_lo, s[48:49], v[16:17]
	s_and_b32 s59, s0, s2
	s_branch .LBB12_24
.LBB12_23:                              ;   in Loop: Header=BB12_24 Depth=4
	s_wait_xcnt 0x0
	s_or_b32 exec_lo, exec_lo, s2
	s_wait_loadcnt 0x0
	global_store_b16 v[6:7], v3, off
	s_wait_xcnt 0x0
	v_add_nc_u64_e32 v[6:7], s[52:53], v[6:7]
	s_add_co_i32 s60, s60, -1
	s_add_co_i32 s26, s26, s18
	s_cmp_eq_u32 s60, 0
	s_cbranch_scc1 .LBB12_20
.LBB12_24:                              ;   Parent Loop BB12_3 Depth=1
                                        ;     Parent Loop BB12_18 Depth=2
                                        ;       Parent Loop BB12_21 Depth=3
                                        ; =>      This Inner Loop Header: Depth=4
	s_ashr_i32 s27, s26, 31
	v_mov_b32_e32 v3, 0
	v_add_nc_u64_e32 v[16:17], s[26:27], v[12:13]
	s_delay_alu instid0(VALU_DEP_1) | instskip(SKIP_2) | instid1(SALU_CYCLE_1)
	v_cmp_lt_i64_e64 s2, -1, v[16:17]
	v_cmp_gt_i64_e64 s3, s[50:51], v[16:17]
	s_and_b32 s2, s59, s2
	s_and_b32 s2, s1, s2
	s_delay_alu instid0(SALU_CYCLE_1) | instskip(NEXT) | instid1(SALU_CYCLE_1)
	s_and_b32 s2, s2, vcc_lo
	s_and_b32 s3, s2, s3
	s_delay_alu instid0(SALU_CYCLE_1)
	s_and_saveexec_b32 s2, s3
	s_cbranch_execz .LBB12_23
; %bb.25:                               ;   in Loop: Header=BB12_24 Depth=4
	s_add_co_i32 s62, s58, s26
	s_delay_alu instid0(SALU_CYCLE_1) | instskip(NEXT) | instid1(SALU_CYCLE_1)
	s_ashr_i32 s63, s62, 31
	v_lshl_add_u64 v[16:17], s[62:63], 1, v[4:5]
	global_load_u16 v3, v[16:17], off
	s_branch .LBB12_23
.LBB12_26:
	s_endpgm
	.section	.rodata,"a",@progbits
	.p2align	6, 0x0
	.amdhsa_kernel _ZN2at6native14vol2col_kernelIN3c108BFloat16EEEvlPKT_iiiiiiiiiiiiiiiiiiPS4_
		.amdhsa_group_segment_fixed_size 0
		.amdhsa_private_segment_fixed_size 0
		.amdhsa_kernarg_size 352
		.amdhsa_user_sgpr_count 2
		.amdhsa_user_sgpr_dispatch_ptr 0
		.amdhsa_user_sgpr_queue_ptr 0
		.amdhsa_user_sgpr_kernarg_segment_ptr 1
		.amdhsa_user_sgpr_dispatch_id 0
		.amdhsa_user_sgpr_kernarg_preload_length 0
		.amdhsa_user_sgpr_kernarg_preload_offset 0
		.amdhsa_user_sgpr_private_segment_size 0
		.amdhsa_wavefront_size32 1
		.amdhsa_uses_dynamic_stack 0
		.amdhsa_enable_private_segment 0
		.amdhsa_system_sgpr_workgroup_id_x 1
		.amdhsa_system_sgpr_workgroup_id_y 0
		.amdhsa_system_sgpr_workgroup_id_z 0
		.amdhsa_system_sgpr_workgroup_info 0
		.amdhsa_system_vgpr_workitem_id 0
		.amdhsa_next_free_vgpr 28
		.amdhsa_next_free_sgpr 66
		.amdhsa_named_barrier_count 0
		.amdhsa_reserve_vcc 1
		.amdhsa_float_round_mode_32 0
		.amdhsa_float_round_mode_16_64 0
		.amdhsa_float_denorm_mode_32 3
		.amdhsa_float_denorm_mode_16_64 3
		.amdhsa_fp16_overflow 0
		.amdhsa_memory_ordered 1
		.amdhsa_forward_progress 1
		.amdhsa_inst_pref_size 25
		.amdhsa_round_robin_scheduling 0
		.amdhsa_exception_fp_ieee_invalid_op 0
		.amdhsa_exception_fp_denorm_src 0
		.amdhsa_exception_fp_ieee_div_zero 0
		.amdhsa_exception_fp_ieee_overflow 0
		.amdhsa_exception_fp_ieee_underflow 0
		.amdhsa_exception_fp_ieee_inexact 0
		.amdhsa_exception_int_div_zero 0
	.end_amdhsa_kernel
	.section	.text._ZN2at6native14vol2col_kernelIN3c108BFloat16EEEvlPKT_iiiiiiiiiiiiiiiiiiPS4_,"axG",@progbits,_ZN2at6native14vol2col_kernelIN3c108BFloat16EEEvlPKT_iiiiiiiiiiiiiiiiiiPS4_,comdat
.Lfunc_end12:
	.size	_ZN2at6native14vol2col_kernelIN3c108BFloat16EEEvlPKT_iiiiiiiiiiiiiiiiiiPS4_, .Lfunc_end12-_ZN2at6native14vol2col_kernelIN3c108BFloat16EEEvlPKT_iiiiiiiiiiiiiiiiiiPS4_
                                        ; -- End function
	.set _ZN2at6native14vol2col_kernelIN3c108BFloat16EEEvlPKT_iiiiiiiiiiiiiiiiiiPS4_.num_vgpr, 28
	.set _ZN2at6native14vol2col_kernelIN3c108BFloat16EEEvlPKT_iiiiiiiiiiiiiiiiiiPS4_.num_agpr, 0
	.set _ZN2at6native14vol2col_kernelIN3c108BFloat16EEEvlPKT_iiiiiiiiiiiiiiiiiiPS4_.numbered_sgpr, 66
	.set _ZN2at6native14vol2col_kernelIN3c108BFloat16EEEvlPKT_iiiiiiiiiiiiiiiiiiPS4_.num_named_barrier, 0
	.set _ZN2at6native14vol2col_kernelIN3c108BFloat16EEEvlPKT_iiiiiiiiiiiiiiiiiiPS4_.private_seg_size, 0
	.set _ZN2at6native14vol2col_kernelIN3c108BFloat16EEEvlPKT_iiiiiiiiiiiiiiiiiiPS4_.uses_vcc, 1
	.set _ZN2at6native14vol2col_kernelIN3c108BFloat16EEEvlPKT_iiiiiiiiiiiiiiiiiiPS4_.uses_flat_scratch, 0
	.set _ZN2at6native14vol2col_kernelIN3c108BFloat16EEEvlPKT_iiiiiiiiiiiiiiiiiiPS4_.has_dyn_sized_stack, 0
	.set _ZN2at6native14vol2col_kernelIN3c108BFloat16EEEvlPKT_iiiiiiiiiiiiiiiiiiPS4_.has_recursion, 0
	.set _ZN2at6native14vol2col_kernelIN3c108BFloat16EEEvlPKT_iiiiiiiiiiiiiiiiiiPS4_.has_indirect_call, 0
	.section	.AMDGPU.csdata,"",@progbits
; Kernel info:
; codeLenInByte = 3132
; TotalNumSgprs: 68
; NumVgprs: 28
; ScratchSize: 0
; MemoryBound: 0
; FloatMode: 240
; IeeeMode: 1
; LDSByteSize: 0 bytes/workgroup (compile time only)
; SGPRBlocks: 0
; VGPRBlocks: 1
; NumSGPRsForWavesPerEU: 68
; NumVGPRsForWavesPerEU: 28
; NamedBarCnt: 0
; Occupancy: 16
; WaveLimiterHint : 0
; COMPUTE_PGM_RSRC2:SCRATCH_EN: 0
; COMPUTE_PGM_RSRC2:USER_SGPR: 2
; COMPUTE_PGM_RSRC2:TRAP_HANDLER: 0
; COMPUTE_PGM_RSRC2:TGID_X_EN: 1
; COMPUTE_PGM_RSRC2:TGID_Y_EN: 0
; COMPUTE_PGM_RSRC2:TGID_Z_EN: 0
; COMPUTE_PGM_RSRC2:TIDIG_COMP_CNT: 0
	.section	.text._ZN2at6native13im2col_kernelIN3c108BFloat16EEEvlPKT_llllllllllllPS4_,"axG",@progbits,_ZN2at6native13im2col_kernelIN3c108BFloat16EEEvlPKT_llllllllllllPS4_,comdat
	.protected	_ZN2at6native13im2col_kernelIN3c108BFloat16EEEvlPKT_llllllllllllPS4_ ; -- Begin function _ZN2at6native13im2col_kernelIN3c108BFloat16EEEvlPKT_llllllllllllPS4_
	.globl	_ZN2at6native13im2col_kernelIN3c108BFloat16EEEvlPKT_llllllllllllPS4_
	.p2align	8
	.type	_ZN2at6native13im2col_kernelIN3c108BFloat16EEEvlPKT_llllllllllllPS4_,@function
_ZN2at6native13im2col_kernelIN3c108BFloat16EEEvlPKT_llllllllllllPS4_: ; @_ZN2at6native13im2col_kernelIN3c108BFloat16EEEvlPKT_llllllllllllPS4_
; %bb.0:
	s_load_b32 s2, s[0:1], 0x84
	s_bfe_u32 s4, ttmp6, 0x4000c
	v_mov_b32_e32 v2, 0
	s_add_co_i32 s21, s4, 1
	s_load_b512 s[4:19], s[0:1], 0x0
	s_and_b32 s3, ttmp6, 15
	s_mul_i32 s21, ttmp9, s21
	s_getreg_b32 s20, hwreg(HW_REG_IB_STS2, 6, 4)
	v_mov_b32_e32 v1, v2
	s_add_co_i32 s3, s3, s21
	s_wait_kmcnt 0x0
	s_and_b32 s2, s2, 0xffff
	s_cmp_eq_u32 s20, 0
	s_mov_b32 s20, exec_lo
	s_cselect_b32 s3, ttmp9, s3
	s_delay_alu instid0(SALU_CYCLE_1) | instskip(SKIP_1) | instid1(VALU_DEP_1)
	v_mad_nc_u64_u32 v[0:1], s2, s3, v[0:1]
	s_mov_b32 s3, 0
	v_cmpx_gt_i64_e64 s[4:5], v[0:1]
	s_cbranch_execz .LBB13_19
; %bb.1:
	s_load_b256 s[20:27], s[0:1], 0x60
	s_wait_kmcnt 0x0
	s_add_nc_u64 s[26:27], s[0:1], 0x78
	v_cmp_gt_i64_e64 s33, s[12:13], 0
	s_load_b32 s28, s[26:27], 0x0
	s_load_b256 s[36:43], s[0:1], 0x40
	v_cmp_gt_i64_e64 s58, s[14:15], 0
	s_mov_b32 s29, s3
	s_lshl_b64 s[30:31], s[10:11], 1
	s_mov_b64 s[48:49], 0xffffffff
	s_mov_b32 s59, 0
	v_cvt_f32_u32_e32 v3, s22
	s_wait_xcnt 0x0
	s_mul_u64 s[0:1], s[14:15], s[20:21]
	s_wait_kmcnt 0x0
	s_mul_i32 s28, s28, s2
	s_mul_u64 s[26:27], s[0:1], s[12:13]
	s_lshl_b64 s[0:1], s[18:19], 1
	v_rcp_iflag_f32_e32 v3, v3
	s_sub_nc_u64 s[0:1], 0, s[0:1]
	s_lshl_b64 s[34:35], s[38:39], 1
	s_add_nc_u64 s[6:7], s[6:7], s[0:1]
	s_mul_u64 s[0:1], s[40:41], s[10:11]
	s_lshl_b64 s[46:47], s[42:43], 1
	s_lshl_b64 s[44:45], s[0:1], 1
	v_nop
	v_mul_f32_e32 v3, 0x4f7ffffe, v3
	s_mul_u64 s[0:1], s[22:23], s[20:21]
	s_ashr_i32 s52, s23, 31
	s_lshl_b64 s[50:51], s[0:1], 1
	s_delay_alu instid0(VALU_DEP_1)
	v_cvt_u32_f32_e32 v16, v3
	s_branch .LBB13_3
.LBB13_2:                               ;   in Loop: Header=BB13_3 Depth=1
	v_add_nc_u64_e32 v[0:1], s[28:29], v[0:1]
	s_delay_alu instid0(VALU_DEP_1) | instskip(SKIP_1) | instid1(SALU_CYCLE_1)
	v_cmp_le_i64_e32 vcc_lo, s[4:5], v[0:1]
	s_or_b32 s59, vcc_lo, s59
	s_and_not1_b32 exec_lo, exec_lo, s59
	s_cbranch_execz .LBB13_19
.LBB13_3:                               ; =>This Loop Header: Depth=1
                                        ;     Child Loop BB13_14 Depth 2
                                        ;       Child Loop BB13_17 Depth 3
	v_or_b32_e32 v3, s23, v1
                                        ; implicit-def: $vgpr4_vgpr5
	s_mov_b32 s0, exec_lo
	s_delay_alu instid0(VALU_DEP_1)
	v_cmpx_ne_u64_e32 0, v[2:3]
	s_xor_b32 s1, exec_lo, s0
	s_cbranch_execz .LBB13_5
; %bb.4:                                ;   in Loop: Header=BB13_3 Depth=1
	s_mov_b32 s53, s52
	v_dual_mov_b32 v9, v2 :: v_dual_ashrrev_i32 v4, 31, v1
	s_add_nc_u64 s[54:55], s[22:23], s[52:53]
	s_delay_alu instid0(SALU_CYCLE_1) | instskip(NEXT) | instid1(VALU_DEP_1)
	s_xor_b64 s[54:55], s[54:55], s[52:53]
	v_mov_b32_e32 v5, v4
	s_cvt_f32_u32 s0, s54
	s_cvt_f32_u32 s2, s55
	s_sub_nc_u64 s[60:61], 0, s[54:55]
	s_delay_alu instid0(VALU_DEP_1) | instskip(NEXT) | instid1(SALU_CYCLE_1)
	v_add_nc_u64_e32 v[6:7], v[0:1], v[4:5]
	s_fmamk_f32 s0, s2, 0x4f800000, s0
	v_mov_b32_e32 v13, v2
	s_delay_alu instid0(SALU_CYCLE_2) | instskip(NEXT) | instid1(VALU_DEP_2)
	v_s_rcp_f32 s0, s0
	v_xor_b32_e32 v8, v6, v4
	s_delay_alu instid0(VALU_DEP_3) | instskip(SKIP_1) | instid1(TRANS32_DEP_1)
	v_dual_mov_b32 v19, v2 :: v_dual_bitop2_b32 v12, v7, v4 bitop3:0x14
	v_xor_b32_e32 v4, s52, v4
	s_mul_f32 s0, s0, 0x5f7ffffc
	s_delay_alu instid0(SALU_CYCLE_3) | instskip(NEXT) | instid1(SALU_CYCLE_3)
	s_mul_f32 s2, s0, 0x2f800000
	s_trunc_f32 s2, s2
	s_delay_alu instid0(SALU_CYCLE_3) | instskip(SKIP_1) | instid1(SALU_CYCLE_2)
	s_fmamk_f32 s0, s2, 0xcf800000, s0
	s_cvt_u32_f32 s57, s2
	s_cvt_u32_f32 s56, s0
	s_delay_alu instid0(SALU_CYCLE_3) | instskip(NEXT) | instid1(SALU_CYCLE_1)
	s_mul_u64 s[62:63], s[60:61], s[56:57]
	s_mul_hi_u32 s65, s56, s63
	s_mul_i32 s64, s56, s63
	s_mul_hi_u32 s2, s56, s62
	s_mul_i32 s53, s57, s62
	s_add_nc_u64 s[64:65], s[2:3], s[64:65]
	s_mul_hi_u32 s0, s57, s62
	s_mul_hi_u32 s66, s57, s63
	s_add_co_u32 s2, s64, s53
	s_add_co_ci_u32 s2, s65, s0
	s_mul_i32 s62, s57, s63
	s_add_co_ci_u32 s63, s66, 0
	s_delay_alu instid0(SALU_CYCLE_1) | instskip(NEXT) | instid1(SALU_CYCLE_1)
	s_add_nc_u64 s[62:63], s[2:3], s[62:63]
	s_add_co_u32 s56, s56, s62
	s_cselect_b32 s0, -1, 0
	s_delay_alu instid0(SALU_CYCLE_1) | instskip(SKIP_1) | instid1(SALU_CYCLE_1)
	s_cmp_lg_u32 s0, 0
	s_add_co_ci_u32 s57, s57, s63
	s_mul_u64 s[60:61], s[60:61], s[56:57]
	s_delay_alu instid0(SALU_CYCLE_1)
	s_mul_hi_u32 s63, s56, s61
	s_mul_i32 s62, s56, s61
	s_mul_hi_u32 s2, s56, s60
	s_mul_i32 s53, s57, s60
	s_add_nc_u64 s[62:63], s[2:3], s[62:63]
	s_mul_hi_u32 s0, s57, s60
	s_mul_hi_u32 s64, s57, s61
	s_add_co_u32 s2, s62, s53
	s_add_co_ci_u32 s2, s63, s0
	s_mul_i32 s60, s57, s61
	s_add_co_ci_u32 s61, s64, 0
	s_delay_alu instid0(SALU_CYCLE_1) | instskip(NEXT) | instid1(SALU_CYCLE_1)
	s_add_nc_u64 s[60:61], s[2:3], s[60:61]
	s_add_co_u32 s0, s56, s60
	s_cselect_b32 s2, -1, 0
	v_mul_hi_u32 v18, v8, s0
	s_cmp_lg_u32 s2, 0
	s_add_co_ci_u32 s2, s57, s61
	s_and_b64 s[56:57], s[0:1], s[48:49]
	v_mul_u64_e32 v[10:11], s[2:3], v[8:9]
	v_mul_u64_e32 v[6:7], s[56:57], v[12:13]
	v_mul_u64_e32 v[14:15], s[2:3], v[12:13]
	s_delay_alu instid0(VALU_DEP_3) | instskip(NEXT) | instid1(VALU_DEP_1)
	v_add_nc_u64_e32 v[10:11], v[18:19], v[10:11]
	v_add_co_u32 v3, vcc_lo, v10, v6
	s_delay_alu instid0(VALU_DEP_2) | instskip(NEXT) | instid1(VALU_DEP_4)
	v_add_co_ci_u32_e32 v18, vcc_lo, v11, v7, vcc_lo
	v_add_co_ci_u32_e32 v15, vcc_lo, 0, v15, vcc_lo
	s_delay_alu instid0(VALU_DEP_1) | instskip(NEXT) | instid1(VALU_DEP_1)
	v_add_nc_u64_e32 v[6:7], v[18:19], v[14:15]
	v_mul_u64_e32 v[10:11], s[54:55], v[6:7]
	s_delay_alu instid0(VALU_DEP_1) | instskip(NEXT) | instid1(VALU_DEP_2)
	v_sub_nc_u32_e32 v3, v12, v11
	v_sub_co_u32 v5, vcc_lo, v8, v10
	s_delay_alu instid0(VALU_DEP_1) | instskip(NEXT) | instid1(VALU_DEP_3)
	v_sub_co_ci_u32_e64 v12, null, v12, v11, vcc_lo
	v_subrev_co_ci_u32_e64 v3, null, s55, v3, vcc_lo
	s_delay_alu instid0(VALU_DEP_3) | instskip(SKIP_1) | instid1(VALU_DEP_3)
	v_sub_co_u32 v8, s0, v5, s54
	v_add_nc_u64_e32 v[10:11], 1, v[6:7]
	v_subrev_co_ci_u32_e64 v3, null, 0, v3, s0
	s_delay_alu instid0(VALU_DEP_3) | instskip(SKIP_1) | instid1(VALU_DEP_3)
	v_cmp_le_u32_e32 vcc_lo, s54, v8
	v_cndmask_b32_e64 v8, 0, -1, vcc_lo
	v_cmp_le_u32_e32 vcc_lo, s55, v3
	v_cndmask_b32_e64 v9, 0, -1, vcc_lo
	;; [unrolled: 2-line block ×4, first 2 shown]
	v_cmp_eq_u32_e32 vcc_lo, s55, v3
	v_cndmask_b32_e32 v3, v9, v8, vcc_lo
	v_cmp_eq_u32_e32 vcc_lo, s55, v12
	v_add_nc_u64_e32 v[8:9], 2, v[6:7]
	v_cndmask_b32_e32 v5, v13, v5, vcc_lo
	s_delay_alu instid0(VALU_DEP_4) | instskip(NEXT) | instid1(VALU_DEP_2)
	v_cmp_ne_u32_e32 vcc_lo, 0, v3
	v_cmp_ne_u32_e64 s0, 0, v5
	s_delay_alu instid0(VALU_DEP_4) | instskip(NEXT) | instid1(VALU_DEP_1)
	v_dual_cndmask_b32 v3, v11, v9, vcc_lo :: v_dual_cndmask_b32 v5, v10, v8, vcc_lo
	v_dual_cndmask_b32 v6, v6, v5, s0 :: v_dual_mov_b32 v5, v4
	s_delay_alu instid0(VALU_DEP_1) | instskip(NEXT) | instid1(VALU_DEP_1)
	v_dual_cndmask_b32 v3, v7, v3, s0 :: v_dual_bitop2_b32 v6, v6, v4 bitop3:0x14
	v_xor_b32_e32 v7, v3, v4
	s_delay_alu instid0(VALU_DEP_1)
	v_sub_nc_u64_e32 v[4:5], v[6:7], v[4:5]
.LBB13_5:                               ;   in Loop: Header=BB13_3 Depth=1
	s_and_not1_saveexec_b32 s0, s1
	s_cbranch_execz .LBB13_7
; %bb.6:                                ;   in Loop: Header=BB13_3 Depth=1
	s_sub_co_i32 s1, 0, s22
	s_delay_alu instid0(SALU_CYCLE_1) | instskip(NEXT) | instid1(VALU_DEP_1)
	v_mul_lo_u32 v3, s1, v16
	v_mul_hi_u32 v3, v16, v3
	s_delay_alu instid0(VALU_DEP_1) | instskip(NEXT) | instid1(VALU_DEP_1)
	v_add_nc_u32_e32 v3, v16, v3
	v_mul_hi_u32 v3, v0, v3
	s_delay_alu instid0(VALU_DEP_1) | instskip(NEXT) | instid1(VALU_DEP_1)
	v_mul_lo_u32 v4, v3, s22
	v_dual_add_nc_u32 v5, 1, v3 :: v_dual_sub_nc_u32 v4, v0, v4
	s_delay_alu instid0(VALU_DEP_1) | instskip(SKIP_1) | instid1(VALU_DEP_2)
	v_subrev_nc_u32_e32 v6, s22, v4
	v_cmp_le_u32_e32 vcc_lo, s22, v4
	v_dual_cndmask_b32 v4, v4, v6 :: v_dual_cndmask_b32 v3, v3, v5
	s_delay_alu instid0(VALU_DEP_1) | instskip(NEXT) | instid1(VALU_DEP_2)
	v_cmp_le_u32_e32 vcc_lo, s22, v4
	v_add_nc_u32_e32 v5, 1, v3
	s_delay_alu instid0(VALU_DEP_1)
	v_dual_cndmask_b32 v4, v3, v5 :: v_dual_mov_b32 v5, v2
.LBB13_7:                               ;   in Loop: Header=BB13_3 Depth=1
	s_or_b32 exec_lo, exec_lo, s0
	s_delay_alu instid0(VALU_DEP_1) | instskip(SKIP_1) | instid1(VALU_DEP_1)
	v_or_b32_e32 v3, s21, v5
                                        ; implicit-def: $vgpr6_vgpr7
	s_mov_b32 s0, exec_lo
	v_cmpx_ne_u64_e32 0, v[2:3]
	s_xor_b32 s1, exec_lo, s0
	s_cbranch_execnz .LBB13_10
; %bb.8:                                ;   in Loop: Header=BB13_3 Depth=1
	s_and_not1_saveexec_b32 s0, s1
	s_cbranch_execnz .LBB13_11
.LBB13_9:                               ;   in Loop: Header=BB13_3 Depth=1
	s_or_b32 exec_lo, exec_lo, s0
	s_delay_alu instid0(SALU_CYCLE_1)
	s_and_not1_b32 vcc_lo, exec_lo, s33
	s_cbranch_vccz .LBB13_12
	s_branch .LBB13_2
.LBB13_10:                              ;   in Loop: Header=BB13_3 Depth=1
	s_ashr_i32 s54, s21, 31
	v_dual_mov_b32 v11, v2 :: v_dual_ashrrev_i32 v6, 31, v5
	s_mov_b32 s55, s54
	v_mov_b32_e32 v21, v2
	s_add_nc_u64 s[56:57], s[20:21], s[54:55]
	s_delay_alu instid0(VALU_DEP_2) | instskip(SKIP_1) | instid1(SALU_CYCLE_1)
	v_mov_b32_e32 v7, v6
	s_xor_b64 s[56:57], s[56:57], s[54:55]
	s_cvt_f32_u32 s0, s56
	s_cvt_f32_u32 s2, s57
	s_sub_nc_u64 s[62:63], 0, s[56:57]
	v_add_nc_u64_e32 v[8:9], v[4:5], v[6:7]
	v_mov_b32_e32 v15, v2
	s_fmamk_f32 s0, s2, 0x4f800000, s0
	s_delay_alu instid0(SALU_CYCLE_3) | instskip(NEXT) | instid1(VALU_DEP_2)
	v_s_rcp_f32 s0, s0
	v_xor_b32_e32 v10, v8, v6
	s_delay_alu instid0(VALU_DEP_3) | instskip(NEXT) | instid1(TRANS32_DEP_1)
	v_xor_b32_e32 v14, v9, v6
	s_mul_f32 s0, s0, 0x5f7ffffc
	s_delay_alu instid0(SALU_CYCLE_3) | instskip(NEXT) | instid1(SALU_CYCLE_3)
	s_mul_f32 s2, s0, 0x2f800000
	s_trunc_f32 s2, s2
	s_delay_alu instid0(SALU_CYCLE_3) | instskip(SKIP_1) | instid1(SALU_CYCLE_2)
	s_fmamk_f32 s0, s2, 0xcf800000, s0
	s_cvt_u32_f32 s61, s2
	s_cvt_u32_f32 s60, s0
	s_delay_alu instid0(SALU_CYCLE_3) | instskip(NEXT) | instid1(SALU_CYCLE_1)
	s_mul_u64 s[64:65], s[62:63], s[60:61]
	s_mul_hi_u32 s67, s60, s65
	s_mul_i32 s66, s60, s65
	s_mul_hi_u32 s2, s60, s64
	s_mul_i32 s53, s61, s64
	s_add_nc_u64 s[66:67], s[2:3], s[66:67]
	s_mul_hi_u32 s0, s61, s64
	s_mul_hi_u32 s55, s61, s65
	s_add_co_u32 s2, s66, s53
	s_add_co_ci_u32 s2, s67, s0
	s_mul_i32 s64, s61, s65
	s_add_co_ci_u32 s65, s55, 0
	s_delay_alu instid0(SALU_CYCLE_1) | instskip(NEXT) | instid1(SALU_CYCLE_1)
	s_add_nc_u64 s[64:65], s[2:3], s[64:65]
	s_add_co_u32 s60, s60, s64
	s_cselect_b32 s0, -1, 0
	s_delay_alu instid0(SALU_CYCLE_1) | instskip(SKIP_1) | instid1(SALU_CYCLE_1)
	s_cmp_lg_u32 s0, 0
	s_add_co_ci_u32 s61, s61, s65
	s_mul_u64 s[62:63], s[62:63], s[60:61]
	s_delay_alu instid0(SALU_CYCLE_1)
	s_mul_hi_u32 s65, s60, s63
	s_mul_i32 s64, s60, s63
	s_mul_hi_u32 s2, s60, s62
	s_mul_i32 s53, s61, s62
	s_add_nc_u64 s[64:65], s[2:3], s[64:65]
	s_mul_hi_u32 s0, s61, s62
	s_mul_hi_u32 s55, s61, s63
	s_add_co_u32 s2, s64, s53
	s_add_co_ci_u32 s2, s65, s0
	s_mul_i32 s62, s61, s63
	s_add_co_ci_u32 s63, s55, 0
	s_delay_alu instid0(SALU_CYCLE_1) | instskip(NEXT) | instid1(SALU_CYCLE_1)
	s_add_nc_u64 s[62:63], s[2:3], s[62:63]
	s_add_co_u32 s0, s60, s62
	s_cselect_b32 s2, -1, 0
	v_mul_hi_u32 v20, v10, s0
	s_cmp_lg_u32 s2, 0
	s_add_co_ci_u32 s2, s61, s63
	s_and_b64 s[60:61], s[0:1], s[48:49]
	v_mul_u64_e32 v[12:13], s[2:3], v[10:11]
	v_mul_u64_e32 v[8:9], s[60:61], v[14:15]
	;; [unrolled: 1-line block ×3, first 2 shown]
	s_delay_alu instid0(VALU_DEP_3) | instskip(NEXT) | instid1(VALU_DEP_1)
	v_add_nc_u64_e32 v[12:13], v[20:21], v[12:13]
	v_add_co_u32 v3, vcc_lo, v12, v8
	s_delay_alu instid0(VALU_DEP_2) | instskip(NEXT) | instid1(VALU_DEP_4)
	v_add_co_ci_u32_e32 v20, vcc_lo, v13, v9, vcc_lo
	v_add_co_ci_u32_e32 v19, vcc_lo, 0, v19, vcc_lo
	s_delay_alu instid0(VALU_DEP_1) | instskip(NEXT) | instid1(VALU_DEP_1)
	v_add_nc_u64_e32 v[8:9], v[20:21], v[18:19]
	v_mul_u64_e32 v[12:13], s[56:57], v[8:9]
	s_delay_alu instid0(VALU_DEP_1) | instskip(NEXT) | instid1(VALU_DEP_2)
	v_sub_nc_u32_e32 v3, v14, v13
	v_sub_co_u32 v7, vcc_lo, v10, v12
	s_delay_alu instid0(VALU_DEP_1) | instskip(NEXT) | instid1(VALU_DEP_3)
	v_sub_co_ci_u32_e64 v14, null, v14, v13, vcc_lo
	v_subrev_co_ci_u32_e64 v3, null, s57, v3, vcc_lo
	s_delay_alu instid0(VALU_DEP_3) | instskip(SKIP_1) | instid1(VALU_DEP_3)
	v_sub_co_u32 v10, s0, v7, s56
	v_add_nc_u64_e32 v[12:13], 1, v[8:9]
	v_subrev_co_ci_u32_e64 v3, null, 0, v3, s0
	s_delay_alu instid0(VALU_DEP_3) | instskip(SKIP_1) | instid1(VALU_DEP_3)
	v_cmp_le_u32_e32 vcc_lo, s56, v10
	v_cndmask_b32_e64 v10, 0, -1, vcc_lo
	v_cmp_le_u32_e32 vcc_lo, s57, v3
	v_cndmask_b32_e64 v11, 0, -1, vcc_lo
	;; [unrolled: 2-line block ×4, first 2 shown]
	v_cmp_eq_u32_e32 vcc_lo, s57, v3
	v_cndmask_b32_e32 v3, v11, v10, vcc_lo
	v_cmp_eq_u32_e32 vcc_lo, s57, v14
	v_add_nc_u64_e32 v[10:11], 2, v[8:9]
	v_cndmask_b32_e32 v7, v15, v7, vcc_lo
	s_delay_alu instid0(VALU_DEP_4) | instskip(NEXT) | instid1(VALU_DEP_2)
	v_cmp_ne_u32_e32 vcc_lo, 0, v3
	v_cmp_ne_u32_e64 s0, 0, v7
	s_delay_alu instid0(VALU_DEP_4) | instskip(NEXT) | instid1(VALU_DEP_1)
	v_dual_cndmask_b32 v3, v13, v11, vcc_lo :: v_dual_cndmask_b32 v7, v12, v10, vcc_lo
	v_dual_cndmask_b32 v3, v9, v3, s0 :: v_dual_bitop2_b32 v6, s54, v6 bitop3:0x14
	s_delay_alu instid0(VALU_DEP_1) | instskip(NEXT) | instid1(VALU_DEP_2)
	v_dual_cndmask_b32 v8, v8, v7, s0 :: v_dual_mov_b32 v7, v6
	v_xor_b32_e32 v9, v3, v6
	s_delay_alu instid0(VALU_DEP_2) | instskip(NEXT) | instid1(VALU_DEP_1)
	v_xor_b32_e32 v8, v8, v6
	v_sub_nc_u64_e32 v[6:7], v[8:9], v[6:7]
	s_and_not1_saveexec_b32 s0, s1
	s_cbranch_execz .LBB13_9
.LBB13_11:                              ;   in Loop: Header=BB13_3 Depth=1
	v_cvt_f32_u32_e32 v3, s20
	s_sub_co_i32 s1, 0, s20
	s_delay_alu instid0(VALU_DEP_1) | instskip(SKIP_1) | instid1(TRANS32_DEP_1)
	v_rcp_iflag_f32_e32 v3, v3
	v_nop
	v_mul_f32_e32 v3, 0x4f7ffffe, v3
	s_delay_alu instid0(VALU_DEP_1) | instskip(NEXT) | instid1(VALU_DEP_1)
	v_cvt_u32_f32_e32 v3, v3
	v_mul_lo_u32 v6, s1, v3
	s_delay_alu instid0(VALU_DEP_1) | instskip(NEXT) | instid1(VALU_DEP_1)
	v_mul_hi_u32 v6, v3, v6
	v_add_nc_u32_e32 v3, v3, v6
	s_delay_alu instid0(VALU_DEP_1) | instskip(NEXT) | instid1(VALU_DEP_1)
	v_mul_hi_u32 v3, v4, v3
	v_mul_lo_u32 v6, v3, s20
	s_delay_alu instid0(VALU_DEP_1) | instskip(NEXT) | instid1(VALU_DEP_1)
	v_dual_add_nc_u32 v7, 1, v3 :: v_dual_sub_nc_u32 v6, v4, v6
	v_subrev_nc_u32_e32 v8, s20, v6
	v_cmp_le_u32_e32 vcc_lo, s20, v6
	s_delay_alu instid0(VALU_DEP_2) | instskip(NEXT) | instid1(VALU_DEP_1)
	v_dual_cndmask_b32 v6, v6, v8 :: v_dual_cndmask_b32 v3, v3, v7
	v_cmp_le_u32_e32 vcc_lo, s20, v6
	s_delay_alu instid0(VALU_DEP_2) | instskip(NEXT) | instid1(VALU_DEP_1)
	v_add_nc_u32_e32 v7, 1, v3
	v_dual_cndmask_b32 v6, v3, v7 :: v_dual_mov_b32 v7, v2
	s_or_b32 exec_lo, exec_lo, s0
	s_delay_alu instid0(SALU_CYCLE_1)
	s_and_not1_b32 vcc_lo, exec_lo, s33
	s_cbranch_vccnz .LBB13_2
.LBB13_12:                              ;   in Loop: Header=BB13_3 Depth=1
	s_delay_alu instid0(VALU_DEP_1) | instskip(SKIP_2) | instid1(VALU_DEP_2)
	v_mul_u64_e32 v[8:9], s[20:21], v[6:7]
	v_mul_u64_e32 v[10:11], s[22:23], v[4:5]
	s_mov_b64 s[54:55], 0
	v_sub_nc_u64_e32 v[4:5], v[4:5], v[8:9]
	s_delay_alu instid0(VALU_DEP_2) | instskip(NEXT) | instid1(VALU_DEP_2)
	v_sub_nc_u64_e32 v[10:11], v[0:1], v[10:11]
	v_mul_u64_e32 v[8:9], s[36:37], v[4:5]
	v_mad_nc_u64_u32 v[12:13], s26, v6, v[4:5]
	s_delay_alu instid0(VALU_DEP_3) | instskip(SKIP_1) | instid1(VALU_DEP_3)
	v_mul_u64_e32 v[14:15], s[34:35], v[10:11]
	v_mul_u64_e32 v[18:19], s[38:39], v[10:11]
	v_mad_u32 v3, s27, v6, v13
	s_delay_alu instid0(VALU_DEP_1) | instskip(SKIP_1) | instid1(VALU_DEP_2)
	v_mad_u32 v13, s26, v7, v3
	v_sub_nc_u64_e64 v[4:5], v[8:9], s[16:17]
	v_mul_u64_e32 v[12:13], s[22:23], v[12:13]
	s_delay_alu instid0(VALU_DEP_2) | instskip(NEXT) | instid1(VALU_DEP_1)
	v_mad_nc_u64_u32 v[8:9], v6, s8, v[4:5]
	v_mad_u32 v3, v7, s8, v9
	s_delay_alu instid0(VALU_DEP_2) | instskip(NEXT) | instid1(VALU_DEP_2)
	v_mad_nc_u64_u32 v[14:15], s30, v8, v[14:15]
	v_mad_u32 v3, v6, s9, v3
	s_delay_alu instid0(VALU_DEP_2) | instskip(SKIP_1) | instid1(VALU_DEP_1)
	v_mad_u32 v6, s31, v8, v15
	v_lshl_add_u64 v[12:13], v[12:13], 1, s[24:25]
	v_lshl_add_u64 v[10:11], v[10:11], 1, v[12:13]
	s_delay_alu instid0(VALU_DEP_3) | instskip(SKIP_1) | instid1(VALU_DEP_2)
	v_mad_u32 v15, s30, v3, v6
	v_sub_nc_u64_e64 v[6:7], v[18:19], s[18:19]
	v_add_nc_u64_e32 v[8:9], s[6:7], v[14:15]
	s_branch .LBB13_14
.LBB13_13:                              ;   in Loop: Header=BB13_14 Depth=2
	s_delay_alu instid0(VALU_DEP_1) | instskip(SKIP_1) | instid1(SALU_CYCLE_1)
	v_add_nc_u64_e32 v[8:9], s[44:45], v[8:9]
	s_add_nc_u64 s[54:55], s[54:55], 1
	s_cmp_eq_u64 s[54:55], s[12:13]
	s_cbranch_scc1 .LBB13_2
.LBB13_14:                              ;   Parent Loop BB13_3 Depth=1
                                        ; =>  This Loop Header: Depth=2
                                        ;       Child Loop BB13_17 Depth 3
	s_and_not1_b32 vcc_lo, exec_lo, s58
	s_cbranch_vccnz .LBB13_13
; %bb.15:                               ;   in Loop: Header=BB13_14 Depth=2
	v_mad_nc_u64_u32 v[12:13], s54, s40, v[4:5]
	s_mul_i32 s0, s55, s40
	s_mul_i32 s1, s54, s41
	v_mov_b64_e32 v[14:15], v[8:9]
	s_mov_b64 s[56:57], s[14:15]
	s_delay_alu instid0(VALU_DEP_2) | instskip(NEXT) | instid1(VALU_DEP_1)
	v_add3_u32 v13, s1, s0, v13
	v_cmp_lt_i64_e32 vcc_lo, -1, v[12:13]
	v_cmp_gt_i64_e64 s0, s[8:9], v[12:13]
	v_mov_b64_e32 v[12:13], v[6:7]
	s_branch .LBB13_17
.LBB13_16:                              ;   in Loop: Header=BB13_17 Depth=3
	s_wait_xcnt 0x0
	s_or_b32 exec_lo, exec_lo, s1
	s_wait_loadcnt 0x0
	global_store_b16 v[10:11], v3, off
	v_add_nc_u64_e32 v[14:15], s[46:47], v[14:15]
	v_add_nc_u64_e32 v[12:13], s[42:43], v[12:13]
	s_wait_xcnt 0x0
	v_add_nc_u64_e32 v[10:11], s[50:51], v[10:11]
	s_add_nc_u64 s[56:57], s[56:57], -1
	s_delay_alu instid0(SALU_CYCLE_1)
	s_cmp_eq_u64 s[56:57], 0
	s_cbranch_scc1 .LBB13_13
.LBB13_17:                              ;   Parent Loop BB13_3 Depth=1
                                        ;     Parent Loop BB13_14 Depth=2
                                        ; =>    This Inner Loop Header: Depth=3
	s_delay_alu instid0(VALU_DEP_1) | instskip(SKIP_3) | instid1(SALU_CYCLE_1)
	v_cmp_lt_i64_e64 s1, -1, v[12:13]
	v_cmp_gt_i64_e64 s2, s[10:11], v[12:13]
	v_mov_b32_e32 v3, 0
	s_and_b32 s1, vcc_lo, s1
	s_and_b32 s1, s0, s1
	s_delay_alu instid0(SALU_CYCLE_1) | instskip(NEXT) | instid1(SALU_CYCLE_1)
	s_and_b32 s2, s1, s2
	s_and_saveexec_b32 s1, s2
	s_cbranch_execz .LBB13_16
; %bb.18:                               ;   in Loop: Header=BB13_17 Depth=3
	global_load_u16 v3, v[14:15], off
	s_branch .LBB13_16
.LBB13_19:
	s_endpgm
	.section	.rodata,"a",@progbits
	.p2align	6, 0x0
	.amdhsa_kernel _ZN2at6native13im2col_kernelIN3c108BFloat16EEEvlPKT_llllllllllllPS4_
		.amdhsa_group_segment_fixed_size 0
		.amdhsa_private_segment_fixed_size 0
		.amdhsa_kernarg_size 376
		.amdhsa_user_sgpr_count 2
		.amdhsa_user_sgpr_dispatch_ptr 0
		.amdhsa_user_sgpr_queue_ptr 0
		.amdhsa_user_sgpr_kernarg_segment_ptr 1
		.amdhsa_user_sgpr_dispatch_id 0
		.amdhsa_user_sgpr_kernarg_preload_length 0
		.amdhsa_user_sgpr_kernarg_preload_offset 0
		.amdhsa_user_sgpr_private_segment_size 0
		.amdhsa_wavefront_size32 1
		.amdhsa_uses_dynamic_stack 0
		.amdhsa_enable_private_segment 0
		.amdhsa_system_sgpr_workgroup_id_x 1
		.amdhsa_system_sgpr_workgroup_id_y 0
		.amdhsa_system_sgpr_workgroup_id_z 0
		.amdhsa_system_sgpr_workgroup_info 0
		.amdhsa_system_vgpr_workitem_id 0
		.amdhsa_next_free_vgpr 22
		.amdhsa_next_free_sgpr 68
		.amdhsa_named_barrier_count 0
		.amdhsa_reserve_vcc 1
		.amdhsa_float_round_mode_32 0
		.amdhsa_float_round_mode_16_64 0
		.amdhsa_float_denorm_mode_32 3
		.amdhsa_float_denorm_mode_16_64 3
		.amdhsa_fp16_overflow 0
		.amdhsa_memory_ordered 1
		.amdhsa_forward_progress 1
		.amdhsa_inst_pref_size 17
		.amdhsa_round_robin_scheduling 0
		.amdhsa_exception_fp_ieee_invalid_op 0
		.amdhsa_exception_fp_denorm_src 0
		.amdhsa_exception_fp_ieee_div_zero 0
		.amdhsa_exception_fp_ieee_overflow 0
		.amdhsa_exception_fp_ieee_underflow 0
		.amdhsa_exception_fp_ieee_inexact 0
		.amdhsa_exception_int_div_zero 0
	.end_amdhsa_kernel
	.section	.text._ZN2at6native13im2col_kernelIN3c108BFloat16EEEvlPKT_llllllllllllPS4_,"axG",@progbits,_ZN2at6native13im2col_kernelIN3c108BFloat16EEEvlPKT_llllllllllllPS4_,comdat
.Lfunc_end13:
	.size	_ZN2at6native13im2col_kernelIN3c108BFloat16EEEvlPKT_llllllllllllPS4_, .Lfunc_end13-_ZN2at6native13im2col_kernelIN3c108BFloat16EEEvlPKT_llllllllllllPS4_
                                        ; -- End function
	.set _ZN2at6native13im2col_kernelIN3c108BFloat16EEEvlPKT_llllllllllllPS4_.num_vgpr, 22
	.set _ZN2at6native13im2col_kernelIN3c108BFloat16EEEvlPKT_llllllllllllPS4_.num_agpr, 0
	.set _ZN2at6native13im2col_kernelIN3c108BFloat16EEEvlPKT_llllllllllllPS4_.numbered_sgpr, 68
	.set _ZN2at6native13im2col_kernelIN3c108BFloat16EEEvlPKT_llllllllllllPS4_.num_named_barrier, 0
	.set _ZN2at6native13im2col_kernelIN3c108BFloat16EEEvlPKT_llllllllllllPS4_.private_seg_size, 0
	.set _ZN2at6native13im2col_kernelIN3c108BFloat16EEEvlPKT_llllllllllllPS4_.uses_vcc, 1
	.set _ZN2at6native13im2col_kernelIN3c108BFloat16EEEvlPKT_llllllllllllPS4_.uses_flat_scratch, 0
	.set _ZN2at6native13im2col_kernelIN3c108BFloat16EEEvlPKT_llllllllllllPS4_.has_dyn_sized_stack, 0
	.set _ZN2at6native13im2col_kernelIN3c108BFloat16EEEvlPKT_llllllllllllPS4_.has_recursion, 0
	.set _ZN2at6native13im2col_kernelIN3c108BFloat16EEEvlPKT_llllllllllllPS4_.has_indirect_call, 0
	.section	.AMDGPU.csdata,"",@progbits
; Kernel info:
; codeLenInByte = 2160
; TotalNumSgprs: 70
; NumVgprs: 22
; ScratchSize: 0
; MemoryBound: 0
; FloatMode: 240
; IeeeMode: 1
; LDSByteSize: 0 bytes/workgroup (compile time only)
; SGPRBlocks: 0
; VGPRBlocks: 1
; NumSGPRsForWavesPerEU: 70
; NumVGPRsForWavesPerEU: 22
; NamedBarCnt: 0
; Occupancy: 16
; WaveLimiterHint : 0
; COMPUTE_PGM_RSRC2:SCRATCH_EN: 0
; COMPUTE_PGM_RSRC2:USER_SGPR: 2
; COMPUTE_PGM_RSRC2:TRAP_HANDLER: 0
; COMPUTE_PGM_RSRC2:TGID_X_EN: 1
; COMPUTE_PGM_RSRC2:TGID_Y_EN: 0
; COMPUTE_PGM_RSRC2:TGID_Z_EN: 0
; COMPUTE_PGM_RSRC2:TIDIG_COMP_CNT: 0
	.section	.text._ZN2at6native13vol2im_kernelIN3c108BFloat16ES3_EEvlPKT_jjjjjjjjjjjjjjjjjjjPS4_,"axG",@progbits,_ZN2at6native13vol2im_kernelIN3c108BFloat16ES3_EEvlPKT_jjjjjjjjjjjjjjjjjjjPS4_,comdat
	.protected	_ZN2at6native13vol2im_kernelIN3c108BFloat16ES3_EEvlPKT_jjjjjjjjjjjjjjjjjjjPS4_ ; -- Begin function _ZN2at6native13vol2im_kernelIN3c108BFloat16ES3_EEvlPKT_jjjjjjjjjjjjjjjjjjjPS4_
	.globl	_ZN2at6native13vol2im_kernelIN3c108BFloat16ES3_EEvlPKT_jjjjjjjjjjjjjjjjjjjPS4_
	.p2align	8
	.type	_ZN2at6native13vol2im_kernelIN3c108BFloat16ES3_EEvlPKT_jjjjjjjjjjjjjjjjjjjPS4_,@function
_ZN2at6native13vol2im_kernelIN3c108BFloat16ES3_EEvlPKT_jjjjjjjjjjjjjjjjjjjPS4_: ; @_ZN2at6native13vol2im_kernelIN3c108BFloat16ES3_EEvlPKT_jjjjjjjjjjjjjjjjjjjPS4_
; %bb.0:
	s_clause 0x1
	s_load_b32 s2, s[0:1], 0x74
	s_load_b128 s[20:23], s[0:1], 0x0
	s_bfe_u32 s3, ttmp6, 0x4000c
	s_and_b32 s4, ttmp6, 15
	s_add_co_i32 s3, s3, 1
	s_getreg_b32 s5, hwreg(HW_REG_IB_STS2, 6, 4)
	s_mul_i32 s3, ttmp9, s3
	v_mov_b32_e32 v1, 0
	s_add_co_i32 s4, s4, s3
	s_mov_b32 s29, 0
	s_wait_kmcnt 0x0
	s_and_b32 s2, s2, 0xffff
	s_cmp_eq_u32 s5, 0
	s_cselect_b32 s3, ttmp9, s4
	s_delay_alu instid0(SALU_CYCLE_1) | instskip(SKIP_1) | instid1(VALU_DEP_1)
	v_mad_nc_u64_u32 v[2:3], s2, s3, v[0:1]
	s_mov_b32 s3, exec_lo
	v_cmpx_gt_i64_e64 s[20:21], v[2:3]
	s_cbranch_execz .LBB14_27
; %bb.1:
	s_clause 0x2
	s_load_b96 s[24:26], s[0:1], 0x10
	s_load_b256 s[4:11], s[0:1], 0x20
	s_load_b256 s[12:19], s[0:1], 0x40
	s_add_nc_u64 s[40:41], s[0:1], 0x68
	s_load_b64 s[30:31], s[0:1], 0x60
	s_wait_kmcnt 0x0
	s_mov_b32 s19, s29
	s_load_b32 s0, s[40:41], 0x0
	s_mov_b32 s35, s29
	s_mov_b32 s37, s29
	s_mov_b32 s39, s29
	s_mov_b32 s45, s29
	s_mov_b32 s47, s29
	s_mov_b32 s53, s29
	s_mov_b32 s55, s29
	s_mov_b32 s57, s29
	s_cvt_f32_u32 s36, s26
	s_wait_xcnt 0x0
	s_cvt_f32_u32 s40, s25
	s_cvt_f32_u32 s42, s24
	s_mul_i32 s1, s25, s26
	v_rcp_iflag_f32_e32 v0, s36
	v_rcp_iflag_f32_e32 v4, s40
	s_wait_kmcnt 0x0
	s_mul_i32 s36, s0, s2
	s_add_co_i32 s3, s6, -1
	v_rcp_iflag_f32_e32 v5, s42
	s_add_co_i32 s27, s5, -1
	s_mov_b32 s34, s6
	v_readfirstlane_b32 s0, v0
	v_readfirstlane_b32 s2, v4
	s_mul_i32 s6, s1, s24
	s_mul_i32 s1, s15, s3
	;; [unrolled: 1-line block ×3, first 2 shown]
	s_mul_f32 s0, s0, 0x4f7ffffe
	s_add_co_i32 s27, s1, 1
	s_cvt_f32_u32 s1, s6
	s_add_co_i32 s33, s4, -1
	s_mul_f32 s2, s2, 0x4f7ffffe
	s_cvt_u32_f32 s0, s0
	s_mul_i32 s60, s13, s33
	s_add_co_i32 s33, s3, 1
	v_readfirstlane_b32 s3, v5
	v_rcp_iflag_f32_e32 v0, s1
	s_sub_co_i32 s38, 0, s26
	s_cvt_u32_f32 s2, s2
	s_mul_i32 s38, s38, s0
	s_sub_co_i32 s41, 0, s25
	s_mul_f32 s1, s3, 0x4f7ffffe
	s_mul_hi_u32 s3, s0, s38
	s_mul_i32 s41, s41, s2
	s_add_co_i32 s38, s0, s3
	v_nop
	v_readfirstlane_b32 s0, v0
	s_mul_hi_u32 s40, s2, s41
	s_cvt_u32_f32 s1, s1
	s_add_co_i32 s40, s2, s40
	s_cvt_f32_u32 s2, s12
	s_mul_f32 s0, s0, 0x4f7ffffe
	s_sub_co_i32 s3, 0, s24
	s_sub_co_i32 s43, 0, s6
	v_rcp_iflag_f32_e32 v0, s2
	s_cvt_f32_u32 s2, s11
	s_mul_i32 s3, s3, s1
	s_cvt_u32_f32 s0, s0
	s_mul_hi_u32 s3, s1, s3
	v_rcp_iflag_f32_e32 v4, s2
	s_add_co_i32 s42, s1, s3
	s_mul_i32 s1, s43, s0
	v_nop
	v_readfirstlane_b32 s2, v0
	s_mul_hi_u32 s1, s0, s1
	s_cvt_f32_u32 s46, s13
	s_add_co_i32 s44, s0, s1
	s_cvt_f32_u32 s0, s10
	v_readfirstlane_b32 s3, v4
	s_mul_f32 s2, s2, 0x4f7ffffe
	s_cvt_f32_u32 s50, s15
	v_rcp_iflag_f32_e32 v0, s0
	s_mov_b32 s28, s5
	s_cvt_u32_f32 s1, s2
	s_mul_f32 s2, s3, 0x4f7ffffe
	s_sub_co_i32 s3, 0, s12
	v_rcp_iflag_f32_e32 v4, s50
	s_mul_i32 s3, s3, s1
	s_cvt_u32_f32 s0, s2
	v_readfirstlane_b32 s49, v0
	v_rcp_iflag_f32_e32 v0, s46
	s_sub_co_i32 s2, 0, s11
	s_mul_hi_u32 s3, s1, s3
	s_mul_i32 s2, s2, s0
	s_add_co_i32 s46, s1, s3
	s_mul_hi_u32 s1, s0, s2
	s_cvt_f32_u32 s2, s14
	s_add_co_i32 s48, s0, s1
	s_mul_f32 s0, s49, 0x4f7ffffe
	v_nop
	v_readfirstlane_b32 s1, v0
	v_rcp_iflag_f32_e32 v0, s2
	s_sub_co_i32 s3, 0, s10
	s_cvt_u32_f32 s0, s0
	s_mov_b32 s5, s17
	s_mul_f32 s1, s1, 0x4f7ffffe
	s_add_co_i32 s60, s60, 1
	s_mul_i32 s3, s3, s0
	v_nop
	v_readfirstlane_b32 s51, v0
	s_cvt_u32_f32 s1, s1
	s_mul_hi_u32 s2, s0, s3
	s_sub_co_i32 s3, 0, s13
	s_add_co_i32 s50, s0, s2
	v_readfirstlane_b32 s0, v4
	s_mul_i32 s3, s3, s1
	s_mov_b32 s41, s29
	s_mul_hi_u32 s2, s1, s3
	s_mul_f32 s3, s51, 0x4f7ffffe
	s_mul_f32 s0, s0, 0x4f7ffffe
	s_add_co_i32 s52, s1, s2
	s_sub_co_i32 s2, 0, s14
	s_cvt_u32_f32 s1, s3
	s_cvt_u32_f32 s0, s0
	s_sub_co_i32 s3, 0, s15
	s_mov_b32 s43, s29
	s_mul_i32 s2, s2, s1
	s_mul_i32 s3, s3, s0
	s_mul_hi_u32 s2, s1, s2
	s_mov_b32 s49, s29
	s_add_co_i32 s54, s1, s2
	s_mul_hi_u32 s1, s0, s3
	s_mov_b32 s51, s29
	s_add_co_i32 s56, s0, s1
	s_lshl_b64 s[58:59], s[18:19], 1
	s_branch .LBB14_4
.LBB14_2:                               ;   in Loop: Header=BB14_4 Depth=1
	s_or_b32 exec_lo, exec_lo, s62
.LBB14_3:                               ;   in Loop: Header=BB14_4 Depth=1
	s_delay_alu instid0(SALU_CYCLE_1) | instskip(SKIP_2) | instid1(VALU_DEP_2)
	s_or_b32 exec_lo, exec_lo, s61
	v_dual_mov_b32 v4, v1 :: v_dual_mov_b32 v5, v2
	v_add_nc_u64_e32 v[2:3], s[36:37], v[2:3]
	v_ashrrev_i64 v[4:5], 31, v[4:5]
	s_delay_alu instid0(VALU_DEP_2) | instskip(NEXT) | instid1(VALU_DEP_2)
	v_cmp_le_i64_e32 vcc_lo, s[20:21], v[2:3]
	v_add_nc_u64_e32 v[4:5], s[30:31], v[4:5]
	s_or_b32 s19, vcc_lo, s19
	global_store_b16 v[4:5], v7, off
	s_wait_xcnt 0x0
	s_and_not1_b32 exec_lo, exec_lo, s19
	s_cbranch_execz .LBB14_27
.LBB14_4:                               ; =>This Loop Header: Depth=1
                                        ;     Child Loop BB14_14 Depth 2
                                        ;       Child Loop BB14_18 Depth 3
                                        ;         Child Loop BB14_23 Depth 4
	v_mov_b32_e32 v0, v2
	s_mov_b32 s0, exec_lo
	s_delay_alu instid0(VALU_DEP_1) | instskip(NEXT) | instid1(VALU_DEP_1)
	v_mul_u64_e32 v[4:5], s[38:39], v[0:1]
	v_mul_lo_u32 v0, v5, s26
	s_delay_alu instid0(VALU_DEP_1) | instskip(NEXT) | instid1(VALU_DEP_1)
	v_dual_add_nc_u32 v4, 1, v5 :: v_dual_sub_nc_u32 v0, v2, v0
	v_subrev_nc_u32_e32 v6, s26, v0
	v_cmp_le_u32_e32 vcc_lo, s26, v0
	s_delay_alu instid0(VALU_DEP_2) | instskip(NEXT) | instid1(VALU_DEP_1)
	v_dual_cndmask_b32 v4, v5, v4, vcc_lo :: v_dual_cndmask_b32 v0, v0, v6, vcc_lo
	v_dual_mov_b32 v6, 0 :: v_dual_add_nc_u32 v5, 1, v4
	s_delay_alu instid0(VALU_DEP_2) | instskip(NEXT) | instid1(VALU_DEP_2)
	v_cmp_le_u32_e32 vcc_lo, s26, v0
	v_cndmask_b32_e32 v0, v4, v5, vcc_lo
	s_delay_alu instid0(VALU_DEP_1) | instskip(NEXT) | instid1(VALU_DEP_1)
	v_mul_lo_u32 v18, v0, s26
	v_sub_nc_u32_e32 v4, v2, v18
	s_delay_alu instid0(VALU_DEP_1) | instskip(NEXT) | instid1(VALU_DEP_1)
	v_dual_add_nc_u32 v14, s9, v4 :: v_dual_mov_b32 v4, 0
	v_cmpx_le_u32_e64 s27, v14
	s_cbranch_execz .LBB14_6
; %bb.5:                                ;   in Loop: Header=BB14_4 Depth=1
	v_subrev_nc_u32_e32 v6, s27, v14
	v_mov_b32_e32 v7, v1
	s_delay_alu instid0(VALU_DEP_1) | instskip(NEXT) | instid1(VALU_DEP_1)
	v_mul_u64_e32 v[8:9], s[46:47], v[6:7]
	v_mul_lo_u32 v5, v9, s12
	s_delay_alu instid0(VALU_DEP_1) | instskip(NEXT) | instid1(VALU_DEP_1)
	v_sub_nc_u32_e32 v5, v6, v5
	v_subrev_nc_u32_e32 v7, s12, v5
	v_cmp_le_u32_e32 vcc_lo, s12, v5
	s_delay_alu instid0(VALU_DEP_2) | instskip(NEXT) | instid1(VALU_DEP_1)
	v_dual_cndmask_b32 v5, v5, v7 :: v_dual_add_nc_u32 v6, 1, v9
	v_cndmask_b32_e32 v6, v9, v6, vcc_lo
	s_delay_alu instid0(VALU_DEP_2) | instskip(NEXT) | instid1(VALU_DEP_2)
	v_cmp_le_u32_e32 vcc_lo, s12, v5
	v_add_nc_u32_e32 v7, 1, v6
	s_delay_alu instid0(VALU_DEP_1) | instskip(NEXT) | instid1(VALU_DEP_1)
	v_cndmask_b32_e32 v5, v6, v7, vcc_lo
	v_add_nc_u32_e32 v6, 1, v5
.LBB14_6:                               ;   in Loop: Header=BB14_4 Depth=1
	s_or_b32 exec_lo, exec_lo, s0
	v_mul_u64_e32 v[8:9], s[40:41], v[0:1]
	s_mov_b32 s0, exec_lo
	v_mov_b32_e32 v10, 0
	s_delay_alu instid0(VALU_DEP_2) | instskip(SKIP_1) | instid1(VALU_DEP_2)
	v_mul_lo_u32 v5, v9, s25
	v_add_nc_u32_e32 v7, 1, v9
	v_sub_nc_u32_e32 v5, v0, v5
	s_delay_alu instid0(VALU_DEP_1) | instskip(NEXT) | instid1(VALU_DEP_3)
	v_cmp_le_u32_e32 vcc_lo, s25, v5
	v_cndmask_b32_e32 v7, v9, v7, vcc_lo
	v_subrev_nc_u32_e32 v8, s25, v5
	s_delay_alu instid0(VALU_DEP_1) | instskip(NEXT) | instid1(VALU_DEP_1)
	v_dual_cndmask_b32 v5, v5, v8 :: v_dual_add_nc_u32 v8, 1, v7
	v_cmp_le_u32_e32 vcc_lo, s25, v5
	s_delay_alu instid0(VALU_DEP_2) | instskip(NEXT) | instid1(VALU_DEP_1)
	v_cndmask_b32_e32 v12, v7, v8, vcc_lo
	v_mul_lo_u32 v5, v12, s25
	s_delay_alu instid0(VALU_DEP_1) | instskip(NEXT) | instid1(VALU_DEP_1)
	v_sub_nc_u32_e32 v0, v0, v5
	v_add_nc_u32_e32 v8, s8, v0
	s_delay_alu instid0(VALU_DEP_1)
	v_cmpx_le_u32_e64 s33, v8
	s_cbranch_execz .LBB14_8
; %bb.7:                                ;   in Loop: Header=BB14_4 Depth=1
	v_subrev_nc_u32_e32 v0, s33, v8
	s_delay_alu instid0(VALU_DEP_1) | instskip(NEXT) | instid1(VALU_DEP_1)
	v_mul_u64_e32 v[10:11], s[48:49], v[0:1]
	v_mul_lo_u32 v5, v11, s11
	s_delay_alu instid0(VALU_DEP_1) | instskip(NEXT) | instid1(VALU_DEP_1)
	v_dual_sub_nc_u32 v0, v0, v5 :: v_dual_add_nc_u32 v5, 1, v11
	v_subrev_nc_u32_e32 v7, s11, v0
	v_cmp_le_u32_e32 vcc_lo, s11, v0
	s_delay_alu instid0(VALU_DEP_2) | instskip(NEXT) | instid1(VALU_DEP_1)
	v_dual_cndmask_b32 v5, v11, v5 :: v_dual_cndmask_b32 v0, v0, v7
	v_add_nc_u32_e32 v7, 1, v5
	s_delay_alu instid0(VALU_DEP_2) | instskip(NEXT) | instid1(VALU_DEP_2)
	v_cmp_le_u32_e32 vcc_lo, s11, v0
	v_cndmask_b32_e32 v0, v5, v7, vcc_lo
	s_delay_alu instid0(VALU_DEP_1)
	v_add_nc_u32_e32 v10, 1, v0
.LBB14_8:                               ;   in Loop: Header=BB14_4 Depth=1
	s_or_b32 exec_lo, exec_lo, s0
	v_mov_b32_e32 v13, v1
	s_mov_b32 s0, exec_lo
	s_delay_alu instid0(VALU_DEP_1) | instskip(NEXT) | instid1(VALU_DEP_1)
	v_mul_u64_e32 v[16:17], s[42:43], v[12:13]
	v_mul_lo_u32 v0, v17, s24
	s_delay_alu instid0(VALU_DEP_1) | instskip(NEXT) | instid1(VALU_DEP_1)
	v_sub_nc_u32_e32 v0, v12, v0
	v_subrev_nc_u32_e32 v5, s24, v0
	v_cmp_le_u32_e32 vcc_lo, s24, v0
	s_delay_alu instid0(VALU_DEP_2) | instskip(NEXT) | instid1(VALU_DEP_1)
	v_cndmask_b32_e32 v0, v0, v5, vcc_lo
	v_subrev_nc_u32_e32 v5, s24, v0
	v_cmp_le_u32_e32 vcc_lo, s24, v0
	s_delay_alu instid0(VALU_DEP_2) | instskip(NEXT) | instid1(VALU_DEP_1)
	v_cndmask_b32_e32 v0, v0, v5, vcc_lo
	v_add_nc_u32_e32 v12, s7, v0
	s_delay_alu instid0(VALU_DEP_1)
	v_cmpx_le_u32_e64 s60, v12
	s_cbranch_execz .LBB14_10
; %bb.9:                                ;   in Loop: Header=BB14_4 Depth=1
	v_subrev_nc_u32_e32 v0, s60, v12
	s_delay_alu instid0(VALU_DEP_1) | instskip(NEXT) | instid1(VALU_DEP_1)
	v_mul_u64_e32 v[4:5], s[50:51], v[0:1]
	v_mul_lo_u32 v4, v5, s10
	s_delay_alu instid0(VALU_DEP_1) | instskip(NEXT) | instid1(VALU_DEP_1)
	v_dual_sub_nc_u32 v0, v0, v4 :: v_dual_add_nc_u32 v4, 1, v5
	v_subrev_nc_u32_e32 v7, s10, v0
	v_cmp_le_u32_e32 vcc_lo, s10, v0
	s_delay_alu instid0(VALU_DEP_2) | instskip(NEXT) | instid1(VALU_DEP_1)
	v_dual_cndmask_b32 v4, v5, v4, vcc_lo :: v_dual_cndmask_b32 v0, v0, v7, vcc_lo
	v_add_nc_u32_e32 v5, 1, v4
	s_delay_alu instid0(VALU_DEP_2) | instskip(NEXT) | instid1(VALU_DEP_2)
	v_cmp_le_u32_e32 vcc_lo, s10, v0
	v_cndmask_b32_e32 v0, v4, v5, vcc_lo
	s_delay_alu instid0(VALU_DEP_1)
	v_add_nc_u32_e32 v4, 1, v0
.LBB14_10:                              ;   in Loop: Header=BB14_4 Depth=1
	s_or_b32 exec_lo, exec_lo, s0
	v_mov_b32_e32 v13, v1
	s_mov_b32 s61, exec_lo
	s_delay_alu instid0(VALU_DEP_1) | instskip(NEXT) | instid1(VALU_DEP_1)
	v_mul_u64_e32 v[16:17], s[50:51], v[12:13]
	v_mul_lo_u32 v0, v17, s10
	s_delay_alu instid0(VALU_DEP_1) | instskip(NEXT) | instid1(VALU_DEP_1)
	v_sub_nc_u32_e32 v0, v12, v0
	v_subrev_nc_u32_e32 v7, s10, v0
	v_cmp_le_u32_e32 vcc_lo, s10, v0
	s_delay_alu instid0(VALU_DEP_2) | instskip(NEXT) | instid1(VALU_DEP_1)
	v_dual_cndmask_b32 v0, v0, v7 :: v_dual_add_nc_u32 v5, 1, v17
	v_cndmask_b32_e32 v5, v17, v5, vcc_lo
	s_delay_alu instid0(VALU_DEP_2) | instskip(NEXT) | instid1(VALU_DEP_2)
	v_cmp_le_u32_e32 vcc_lo, s10, v0
	v_add_nc_u32_e32 v7, 1, v5
	s_delay_alu instid0(VALU_DEP_1) | instskip(NEXT) | instid1(VALU_DEP_1)
	v_dual_cndmask_b32 v0, v5, v7 :: v_dual_mov_b32 v7, 0
	v_add_min_u32_e64 v13, v0, 1, s16
	s_delay_alu instid0(VALU_DEP_1)
	v_cmpx_lt_u32_e64 v4, v13
	s_cbranch_execz .LBB14_3
; %bb.11:                               ;   in Loop: Header=BB14_4 Depth=1
	v_dual_mov_b32 v9, v1 :: v_dual_mov_b32 v15, v1
	v_dual_mov_b32 v0, v2 :: v_dual_mov_b32 v11, v1
	v_mul_lo_u32 v19, s12, v6
	s_delay_alu instid0(VALU_DEP_3) | instskip(NEXT) | instid1(VALU_DEP_4)
	v_mul_u64_e32 v[16:17], s[48:49], v[8:9]
	v_mul_u64_e32 v[20:21], s[46:47], v[14:15]
	s_delay_alu instid0(VALU_DEP_4) | instskip(SKIP_2) | instid1(VALU_DEP_1)
	v_mul_u64_e32 v[22:23], s[44:45], v[0:1]
	v_dual_mov_b32 v5, v1 :: v_dual_add_nc_u32 v16, s9, v2
	s_mov_b32 s62, 0
	v_sub_nc_u32_e32 v19, v16, v19
	s_delay_alu instid0(VALU_DEP_1) | instskip(NEXT) | instid1(VALU_DEP_3)
	v_sub_nc_u32_e32 v31, v19, v18
	v_mov_b64_e32 v[18:19], v[4:5]
	v_mul_lo_u32 v0, v17, s11
	v_mul_lo_u32 v7, v21, s12
	;; [unrolled: 1-line block ×3, first 2 shown]
	v_add_nc_u32_e32 v20, 1, v17
	v_dual_add_nc_u32 v22, 1, v21 :: v_dual_add_nc_u32 v24, 1, v23
	v_sub_nc_u32_e32 v0, v8, v0
	s_delay_alu instid0(VALU_DEP_1) | instskip(NEXT) | instid1(VALU_DEP_4)
	v_cmp_le_u32_e32 vcc_lo, s11, v0
	v_dual_cndmask_b32 v14, v17, v20 :: v_dual_sub_nc_u32 v7, v14, v7
	s_delay_alu instid0(VALU_DEP_1) | instskip(SKIP_2) | instid1(VALU_DEP_3)
	v_cmp_le_u32_e64 s0, s12, v7
	v_sub_nc_u32_e32 v9, v2, v9
	v_subrev_nc_u32_e32 v17, s11, v0
	v_cndmask_b32_e64 v20, v21, v22, s0
	s_delay_alu instid0(VALU_DEP_3) | instskip(SKIP_1) | instid1(VALU_DEP_4)
	v_cmp_le_u32_e64 s1, s6, v9
	v_subrev_nc_u32_e32 v21, s12, v7
	v_dual_cndmask_b32 v0, v0, v17 :: v_dual_add_nc_u32 v17, 1, v14
	s_delay_alu instid0(VALU_DEP_3) | instskip(SKIP_1) | instid1(VALU_DEP_4)
	v_cndmask_b32_e64 v22, v23, v24, s1
	v_subrev_nc_u32_e32 v23, s6, v9
	v_cndmask_b32_e64 v7, v7, v21, s0
	s_delay_alu instid0(VALU_DEP_4) | instskip(NEXT) | instid1(VALU_DEP_3)
	v_cmp_le_u32_e32 vcc_lo, s11, v0
	v_dual_add_nc_u32 v21, 1, v20 :: v_dual_cndmask_b32 v9, v9, v23, s1
	v_dual_cndmask_b32 v0, v14, v17 :: v_dual_add_nc_u32 v23, 1, v22
	s_delay_alu instid0(VALU_DEP_4) | instskip(NEXT) | instid1(VALU_DEP_3)
	v_cmp_le_u32_e32 vcc_lo, s12, v7
	v_dual_mov_b32 v7, v1 :: v_dual_cndmask_b32 v14, v20, v21
	s_delay_alu instid0(VALU_DEP_4) | instskip(NEXT) | instid1(VALU_DEP_4)
	v_cmp_le_u32_e32 vcc_lo, s6, v9
	v_add_min_u32_e64 v9, v0, 1, s17
	v_cndmask_b32_e32 v17, v22, v23, vcc_lo
	s_delay_alu instid0(VALU_DEP_4) | instskip(NEXT) | instid1(VALU_DEP_3)
	v_add_min_u32_e64 v30, v14, 1, s18
	v_cmp_lt_u32_e32 vcc_lo, v10, v9
	s_delay_alu instid0(VALU_DEP_3) | instskip(SKIP_1) | instid1(VALU_DEP_4)
	v_mul_lo_u32 v14, v17, s4
	v_lshl_add_u64 v[16:17], v[6:7], 1, s[22:23]
	v_cmp_lt_u32_e64 s0, v6, v30
	v_mov_b32_e32 v7, 0
	s_branch .LBB14_14
.LBB14_12:                              ;   in Loop: Header=BB14_14 Depth=2
	s_or_b32 exec_lo, exec_lo, s64
.LBB14_13:                              ;   in Loop: Header=BB14_14 Depth=2
	s_delay_alu instid0(SALU_CYCLE_1) | instskip(SKIP_2) | instid1(VALU_DEP_2)
	s_or_b32 exec_lo, exec_lo, s63
	v_add_nc_u32_e32 v4, 1, v4
	v_add_nc_u64_e32 v[18:19], 1, v[18:19]
	v_cmp_ge_u32_e64 s1, v4, v13
	s_or_b32 s62, s1, s62
	s_delay_alu instid0(SALU_CYCLE_1)
	s_and_not1_b32 exec_lo, exec_lo, s62
	s_cbranch_execz .LBB14_2
.LBB14_14:                              ;   Parent Loop BB14_4 Depth=1
                                        ; =>  This Loop Header: Depth=2
                                        ;       Child Loop BB14_18 Depth 3
                                        ;         Child Loop BB14_23 Depth 4
	s_and_saveexec_b32 s63, vcc_lo
	s_cbranch_execz .LBB14_13
; %bb.15:                               ;   in Loop: Header=BB14_14 Depth=2
	v_mul_lo_u32 v0, v4, s10
	s_mov_b32 s64, 0
	s_delay_alu instid0(VALU_DEP_1) | instskip(NEXT) | instid1(VALU_DEP_1)
	v_dual_mov_b32 v23, v1 :: v_dual_sub_nc_u32 v0, v12, v0
	v_mul_u64_e32 v[20:21], s[52:53], v[0:1]
	s_delay_alu instid0(VALU_DEP_1) | instskip(SKIP_1) | instid1(VALU_DEP_2)
	v_mul_lo_u32 v5, v21, s13
	v_add_nc_u32_e32 v20, 1, v21
	v_sub_nc_u32_e32 v5, v0, v5
	s_delay_alu instid0(VALU_DEP_1) | instskip(NEXT) | instid1(VALU_DEP_1)
	v_cmp_le_u32_e64 s1, s13, v5
	v_cndmask_b32_e64 v20, v21, v20, s1
	v_subrev_nc_u32_e32 v22, s13, v5
	s_delay_alu instid0(VALU_DEP_1) | instskip(NEXT) | instid1(VALU_DEP_1)
	v_dual_add_nc_u32 v21, 1, v20 :: v_dual_cndmask_b32 v5, v5, v22, s1
	v_cmp_le_u32_e64 s1, s13, v5
	s_delay_alu instid0(VALU_DEP_1) | instskip(NEXT) | instid1(VALU_DEP_1)
	v_cndmask_b32_e64 v22, v20, v21, s1
	v_add_nc_u64_e32 v[20:21], v[22:23], v[14:15]
	v_mul_lo_u32 v5, v22, s13
	v_mov_b64_e32 v[22:23], v[10:11]
	s_delay_alu instid0(VALU_DEP_3) | instskip(NEXT) | instid1(VALU_DEP_3)
	v_mul_u64_e32 v[20:21], s[28:29], v[20:21]
	v_dual_mov_b32 v5, v10 :: v_dual_sub_nc_u32 v0, v0, v5
	s_delay_alu instid0(VALU_DEP_1)
	v_cmp_eq_u32_e64 s1, 0, v0
	s_branch .LBB14_18
.LBB14_16:                              ;   in Loop: Header=BB14_18 Depth=3
	s_or_b32 exec_lo, exec_lo, s66
.LBB14_17:                              ;   in Loop: Header=BB14_18 Depth=3
	s_delay_alu instid0(SALU_CYCLE_1) | instskip(SKIP_2) | instid1(VALU_DEP_2)
	s_or_b32 exec_lo, exec_lo, s65
	v_add_nc_u32_e32 v5, 1, v5
	v_add_nc_u64_e32 v[22:23], 1, v[22:23]
	v_cmp_ge_u32_e64 s2, v5, v9
	s_or_b32 s64, s2, s64
	s_delay_alu instid0(SALU_CYCLE_1)
	s_and_not1_b32 exec_lo, exec_lo, s64
	s_cbranch_execz .LBB14_12
.LBB14_18:                              ;   Parent Loop BB14_4 Depth=1
                                        ;     Parent Loop BB14_14 Depth=2
                                        ; =>    This Loop Header: Depth=3
                                        ;         Child Loop BB14_23 Depth 4
	s_and_saveexec_b32 s65, s0
	s_cbranch_execz .LBB14_17
; %bb.19:                               ;   in Loop: Header=BB14_18 Depth=3
	v_mul_lo_u32 v0, v5, s11
	v_mov_b32_e32 v32, v6
	s_mov_b32 s66, 0
	s_delay_alu instid0(VALU_DEP_2) | instskip(NEXT) | instid1(VALU_DEP_1)
	v_sub_nc_u32_e32 v0, v8, v0
	v_mul_u64_e32 v[24:25], s[54:55], v[0:1]
	s_delay_alu instid0(VALU_DEP_1) | instskip(NEXT) | instid1(VALU_DEP_1)
	v_mul_lo_u32 v24, v25, s14
	v_dual_add_nc_u32 v26, 1, v25 :: v_dual_sub_nc_u32 v24, v0, v24
	s_delay_alu instid0(VALU_DEP_1) | instskip(NEXT) | instid1(VALU_DEP_1)
	v_cmp_le_u32_e64 s2, s14, v24
	v_cndmask_b32_e64 v25, v25, v26, s2
	v_subrev_nc_u32_e32 v27, s14, v24
	s_delay_alu instid0(VALU_DEP_1) | instskip(SKIP_1) | instid1(VALU_DEP_2)
	v_dual_add_nc_u32 v26, 1, v25 :: v_dual_cndmask_b32 v24, v24, v27, s2
	v_mov_b32_e32 v27, v1
	v_cmp_le_u32_e64 s2, s14, v24
	s_delay_alu instid0(VALU_DEP_1) | instskip(NEXT) | instid1(VALU_DEP_1)
	v_cndmask_b32_e64 v26, v25, v26, s2
	v_add_nc_u64_e32 v[24:25], v[20:21], v[26:27]
	v_mul_lo_u32 v26, v26, s14
	s_delay_alu instid0(VALU_DEP_2) | instskip(NEXT) | instid1(VALU_DEP_2)
	v_mul_u64_e32 v[24:25], s[34:35], v[24:25]
	v_sub_nc_u32_e32 v0, v0, v26
	v_mov_b64_e32 v[26:27], v[16:17]
	s_delay_alu instid0(VALU_DEP_2)
	v_cmp_eq_u32_e64 s2, 0, v0
	v_mov_b32_e32 v0, v31
	s_branch .LBB14_23
.LBB14_20:                              ;   in Loop: Header=BB14_23 Depth=4
	s_or_b32 exec_lo, exec_lo, s69
.LBB14_21:                              ;   in Loop: Header=BB14_23 Depth=4
	s_delay_alu instid0(SALU_CYCLE_1)
	s_or_b32 exec_lo, exec_lo, s68
.LBB14_22:                              ;   in Loop: Header=BB14_23 Depth=4
	s_delay_alu instid0(SALU_CYCLE_1) | instskip(SKIP_3) | instid1(VALU_DEP_3)
	s_or_b32 exec_lo, exec_lo, s67
	v_add_nc_u32_e32 v32, 1, v32
	v_add_nc_u64_e32 v[26:27], 2, v[26:27]
	v_subrev_nc_u32_e32 v0, s12, v0
	v_cmp_ge_u32_e64 s3, v32, v30
	s_or_b32 s66, s3, s66
	s_delay_alu instid0(SALU_CYCLE_1)
	s_and_not1_b32 exec_lo, exec_lo, s66
	s_cbranch_execz .LBB14_16
.LBB14_23:                              ;   Parent Loop BB14_4 Depth=1
                                        ;     Parent Loop BB14_14 Depth=2
                                        ;       Parent Loop BB14_18 Depth=3
                                        ; =>      This Inner Loop Header: Depth=4
	s_and_saveexec_b32 s67, s1
	s_cbranch_execz .LBB14_22
; %bb.24:                               ;   in Loop: Header=BB14_23 Depth=4
	s_and_saveexec_b32 s68, s2
	s_cbranch_execz .LBB14_21
; %bb.25:                               ;   in Loop: Header=BB14_23 Depth=4
	v_mul_u64_e32 v[28:29], s[56:57], v[0:1]
	s_mov_b32 s69, exec_lo
	s_delay_alu instid0(VALU_DEP_1) | instskip(NEXT) | instid1(VALU_DEP_1)
	v_mul_lo_u32 v28, v29, s15
	v_dual_add_nc_u32 v33, 1, v29 :: v_dual_sub_nc_u32 v28, v0, v28
	s_delay_alu instid0(VALU_DEP_1) | instskip(SKIP_1) | instid1(VALU_DEP_1)
	v_subrev_nc_u32_e32 v34, s15, v28
	v_cmp_le_u32_e64 s3, s15, v28
	v_dual_cndmask_b32 v29, v29, v33, s3 :: v_dual_cndmask_b32 v28, v28, v34, s3
	s_delay_alu instid0(VALU_DEP_1) | instskip(NEXT) | instid1(VALU_DEP_2)
	v_add_nc_u32_e32 v33, 1, v29
	v_cmp_le_u32_e64 s3, s15, v28
	s_delay_alu instid0(VALU_DEP_1) | instskip(NEXT) | instid1(VALU_DEP_1)
	v_cndmask_b32_e64 v28, v29, v33, s3
	v_mul_lo_u32 v29, v28, s15
	s_delay_alu instid0(VALU_DEP_1) | instskip(NEXT) | instid1(VALU_DEP_1)
	v_sub_nc_u32_e32 v29, v0, v29
	v_cmpx_eq_u32_e32 0, v29
	s_cbranch_execz .LBB14_20
; %bb.26:                               ;   in Loop: Header=BB14_23 Depth=4
	v_dual_mov_b32 v29, v1 :: v_dual_lshlrev_b32 v7, 16, v7
	s_delay_alu instid0(VALU_DEP_1) | instskip(NEXT) | instid1(VALU_DEP_1)
	v_add_nc_u64_e32 v[28:29], v[24:25], v[28:29]
	v_mad_nc_u64_u32 v[34:35], v28, s16, v[18:19]
	s_delay_alu instid0(VALU_DEP_1) | instskip(NEXT) | instid1(VALU_DEP_2)
	v_mad_nc_u64_u32 v[36:37], s5, v34, v[22:23]
	v_mad_u32 v33, v29, s16, v35
	s_delay_alu instid0(VALU_DEP_2) | instskip(NEXT) | instid1(VALU_DEP_2)
	v_mad_nc_u64_u32 v[28:29], s58, v36, v[26:27]
	v_mad_u32 v33, s5, v33, v37
	s_delay_alu instid0(VALU_DEP_2) | instskip(NEXT) | instid1(VALU_DEP_1)
	v_mad_u32 v29, s59, v36, v29
	v_mad_u32 v29, s58, v33, v29
	global_load_u16 v28, v[28:29], off
	s_wait_loadcnt 0x0
	s_wait_xcnt 0x0
	v_lshlrev_b32_e32 v28, 16, v28
	s_delay_alu instid0(VALU_DEP_1) | instskip(NEXT) | instid1(VALU_DEP_1)
	v_add_f32_e32 v7, v28, v7
	v_bfe_u32 v28, v7, 16, 1
	v_cmp_o_f32_e64 s3, v7, v7
	s_delay_alu instid0(VALU_DEP_2) | instskip(NEXT) | instid1(VALU_DEP_1)
	v_add3_u32 v28, v7, v28, 0x7fff
	v_lshrrev_b32_e32 v28, 16, v28
	s_delay_alu instid0(VALU_DEP_1)
	v_cndmask_b32_e64 v7, 0x7fc0, v28, s3
	s_branch .LBB14_20
.LBB14_27:
	s_endpgm
	.section	.rodata,"a",@progbits
	.p2align	6, 0x0
	.amdhsa_kernel _ZN2at6native13vol2im_kernelIN3c108BFloat16ES3_EEvlPKT_jjjjjjjjjjjjjjjjjjjPS4_
		.amdhsa_group_segment_fixed_size 0
		.amdhsa_private_segment_fixed_size 0
		.amdhsa_kernarg_size 360
		.amdhsa_user_sgpr_count 2
		.amdhsa_user_sgpr_dispatch_ptr 0
		.amdhsa_user_sgpr_queue_ptr 0
		.amdhsa_user_sgpr_kernarg_segment_ptr 1
		.amdhsa_user_sgpr_dispatch_id 0
		.amdhsa_user_sgpr_kernarg_preload_length 0
		.amdhsa_user_sgpr_kernarg_preload_offset 0
		.amdhsa_user_sgpr_private_segment_size 0
		.amdhsa_wavefront_size32 1
		.amdhsa_uses_dynamic_stack 0
		.amdhsa_enable_private_segment 0
		.amdhsa_system_sgpr_workgroup_id_x 1
		.amdhsa_system_sgpr_workgroup_id_y 0
		.amdhsa_system_sgpr_workgroup_id_z 0
		.amdhsa_system_sgpr_workgroup_info 0
		.amdhsa_system_vgpr_workitem_id 0
		.amdhsa_next_free_vgpr 38
		.amdhsa_next_free_sgpr 70
		.amdhsa_named_barrier_count 0
		.amdhsa_reserve_vcc 1
		.amdhsa_float_round_mode_32 0
		.amdhsa_float_round_mode_16_64 0
		.amdhsa_float_denorm_mode_32 3
		.amdhsa_float_denorm_mode_16_64 3
		.amdhsa_fp16_overflow 0
		.amdhsa_memory_ordered 1
		.amdhsa_forward_progress 1
		.amdhsa_inst_pref_size 21
		.amdhsa_round_robin_scheduling 0
		.amdhsa_exception_fp_ieee_invalid_op 0
		.amdhsa_exception_fp_denorm_src 0
		.amdhsa_exception_fp_ieee_div_zero 0
		.amdhsa_exception_fp_ieee_overflow 0
		.amdhsa_exception_fp_ieee_underflow 0
		.amdhsa_exception_fp_ieee_inexact 0
		.amdhsa_exception_int_div_zero 0
	.end_amdhsa_kernel
	.section	.text._ZN2at6native13vol2im_kernelIN3c108BFloat16ES3_EEvlPKT_jjjjjjjjjjjjjjjjjjjPS4_,"axG",@progbits,_ZN2at6native13vol2im_kernelIN3c108BFloat16ES3_EEvlPKT_jjjjjjjjjjjjjjjjjjjPS4_,comdat
.Lfunc_end14:
	.size	_ZN2at6native13vol2im_kernelIN3c108BFloat16ES3_EEvlPKT_jjjjjjjjjjjjjjjjjjjPS4_, .Lfunc_end14-_ZN2at6native13vol2im_kernelIN3c108BFloat16ES3_EEvlPKT_jjjjjjjjjjjjjjjjjjjPS4_
                                        ; -- End function
	.set _ZN2at6native13vol2im_kernelIN3c108BFloat16ES3_EEvlPKT_jjjjjjjjjjjjjjjjjjjPS4_.num_vgpr, 38
	.set _ZN2at6native13vol2im_kernelIN3c108BFloat16ES3_EEvlPKT_jjjjjjjjjjjjjjjjjjjPS4_.num_agpr, 0
	.set _ZN2at6native13vol2im_kernelIN3c108BFloat16ES3_EEvlPKT_jjjjjjjjjjjjjjjjjjjPS4_.numbered_sgpr, 70
	.set _ZN2at6native13vol2im_kernelIN3c108BFloat16ES3_EEvlPKT_jjjjjjjjjjjjjjjjjjjPS4_.num_named_barrier, 0
	.set _ZN2at6native13vol2im_kernelIN3c108BFloat16ES3_EEvlPKT_jjjjjjjjjjjjjjjjjjjPS4_.private_seg_size, 0
	.set _ZN2at6native13vol2im_kernelIN3c108BFloat16ES3_EEvlPKT_jjjjjjjjjjjjjjjjjjjPS4_.uses_vcc, 1
	.set _ZN2at6native13vol2im_kernelIN3c108BFloat16ES3_EEvlPKT_jjjjjjjjjjjjjjjjjjjPS4_.uses_flat_scratch, 0
	.set _ZN2at6native13vol2im_kernelIN3c108BFloat16ES3_EEvlPKT_jjjjjjjjjjjjjjjjjjjPS4_.has_dyn_sized_stack, 0
	.set _ZN2at6native13vol2im_kernelIN3c108BFloat16ES3_EEvlPKT_jjjjjjjjjjjjjjjjjjjPS4_.has_recursion, 0
	.set _ZN2at6native13vol2im_kernelIN3c108BFloat16ES3_EEvlPKT_jjjjjjjjjjjjjjjjjjjPS4_.has_indirect_call, 0
	.section	.AMDGPU.csdata,"",@progbits
; Kernel info:
; codeLenInByte = 2572
; TotalNumSgprs: 72
; NumVgprs: 38
; ScratchSize: 0
; MemoryBound: 0
; FloatMode: 240
; IeeeMode: 1
; LDSByteSize: 0 bytes/workgroup (compile time only)
; SGPRBlocks: 0
; VGPRBlocks: 2
; NumSGPRsForWavesPerEU: 72
; NumVGPRsForWavesPerEU: 38
; NamedBarCnt: 0
; Occupancy: 16
; WaveLimiterHint : 0
; COMPUTE_PGM_RSRC2:SCRATCH_EN: 0
; COMPUTE_PGM_RSRC2:USER_SGPR: 2
; COMPUTE_PGM_RSRC2:TRAP_HANDLER: 0
; COMPUTE_PGM_RSRC2:TGID_X_EN: 1
; COMPUTE_PGM_RSRC2:TGID_Y_EN: 0
; COMPUTE_PGM_RSRC2:TGID_Z_EN: 0
; COMPUTE_PGM_RSRC2:TIDIG_COMP_CNT: 0
	.section	.text._ZN2at6native13col2im_kernelIN3c108BFloat16ES3_EEvlPKT_llllllllllllPS4_,"axG",@progbits,_ZN2at6native13col2im_kernelIN3c108BFloat16ES3_EEvlPKT_llllllllllllPS4_,comdat
	.protected	_ZN2at6native13col2im_kernelIN3c108BFloat16ES3_EEvlPKT_llllllllllllPS4_ ; -- Begin function _ZN2at6native13col2im_kernelIN3c108BFloat16ES3_EEvlPKT_llllllllllllPS4_
	.globl	_ZN2at6native13col2im_kernelIN3c108BFloat16ES3_EEvlPKT_llllllllllllPS4_
	.p2align	8
	.type	_ZN2at6native13col2im_kernelIN3c108BFloat16ES3_EEvlPKT_llllllllllllPS4_,@function
_ZN2at6native13col2im_kernelIN3c108BFloat16ES3_EEvlPKT_llllllllllllPS4_: ; @_ZN2at6native13col2im_kernelIN3c108BFloat16ES3_EEvlPKT_llllllllllllPS4_
; %bb.0:
	s_load_b32 s2, s[0:1], 0x84
	s_bfe_u32 s4, ttmp6, 0x4000c
	v_mov_b32_e32 v2, 0
	s_add_co_i32 s21, s4, 1
	s_load_b512 s[4:19], s[0:1], 0x0
	s_and_b32 s3, ttmp6, 15
	s_mul_i32 s21, ttmp9, s21
	s_getreg_b32 s20, hwreg(HW_REG_IB_STS2, 6, 4)
	v_mov_b32_e32 v1, v2
	s_add_co_i32 s3, s3, s21
	s_wait_kmcnt 0x0
	s_and_b32 s2, s2, 0xffff
	s_cmp_eq_u32 s20, 0
	s_mov_b32 s20, exec_lo
	s_cselect_b32 s3, ttmp9, s3
	s_delay_alu instid0(SALU_CYCLE_1) | instskip(SKIP_1) | instid1(VALU_DEP_1)
	v_mad_nc_u64_u32 v[0:1], s2, s3, v[0:1]
	s_mov_b32 s3, 0
	v_cmpx_gt_i64_e64 s[4:5], v[0:1]
	s_cbranch_execz .LBB15_55
; %bb.1:
	s_clause 0x1
	s_load_b256 s[20:27], s[0:1], 0x40
	s_load_b256 s[36:43], s[0:1], 0x60
	s_wait_xcnt 0x0
	s_add_nc_u64 s[0:1], s[0:1], 0x78
	v_cvt_f32_u32_e32 v3, s10
	s_load_b32 s30, s[0:1], 0x0
	s_wait_xcnt 0x0
	s_add_nc_u64 s[0:1], s[14:15], -1
	s_add_nc_u64 s[46:47], s[12:13], -1
	s_mul_u64 s[28:29], s[10:11], s[8:9]
	v_rcp_iflag_f32_e32 v3, v3
	s_mov_b32 s31, s3
	s_mov_b64 s[34:35], 0xffffffff
	s_wait_kmcnt 0x0
	s_ashr_i32 s42, s11, 31
	s_mov_b32 s33, 0
	v_nop
	v_mul_f32_e32 v3, 0x4f7ffffe, v3
	s_delay_alu instid0(VALU_DEP_1)
	v_cvt_u32_f32_e32 v32, v3
	s_mul_u64 s[44:45], s[26:27], s[0:1]
	s_mul_u64 s[46:47], s[24:25], s[46:47]
	s_lshl_b64 s[48:49], s[38:39], 1
	s_not_b64 s[50:51], s[46:47]
	s_not_b64 s[52:53], s[44:45]
	s_mul_i32 s30, s30, s2
	s_branch .LBB15_4
.LBB15_2:                               ;   in Loop: Header=BB15_4 Depth=1
	s_or_b32 exec_lo, exec_lo, s58
.LBB15_3:                               ;   in Loop: Header=BB15_4 Depth=1
	s_delay_alu instid0(SALU_CYCLE_1)
	s_or_b32 exec_lo, exec_lo, s43
	v_add_nc_u64_e32 v[0:1], s[30:31], v[0:1]
	v_lshl_add_u64 v[4:5], v[4:5], 1, s[40:41]
	global_store_b16 v[4:5], v33, off
	v_cmp_le_i64_e32 vcc_lo, s[4:5], v[0:1]
	s_or_b32 s33, vcc_lo, s33
	s_wait_xcnt 0x0
	s_and_not1_b32 exec_lo, exec_lo, s33
	s_cbranch_execz .LBB15_55
.LBB15_4:                               ; =>This Loop Header: Depth=1
                                        ;     Child Loop BB15_40 Depth 2
                                        ;       Child Loop BB15_48 Depth 3
	v_dual_mov_b32 v4, v0 :: v_dual_ashrrev_i32 v5, 31, v0
                                        ; implicit-def: $vgpr12_vgpr13
	s_mov_b32 s0, exec_lo
	s_delay_alu instid0(VALU_DEP_1) | instskip(NEXT) | instid1(VALU_DEP_1)
	v_dual_ashrrev_i32 v6, 31, v5 :: v_dual_bitop2_b32 v3, s11, v5 bitop3:0x54
	v_cmpx_ne_u64_e32 0, v[2:3]
	s_xor_b32 s1, exec_lo, s0
	s_cbranch_execz .LBB15_6
; %bb.5:                                ;   in Loop: Header=BB15_4 Depth=1
	s_mov_b32 s43, s42
	v_dual_mov_b32 v7, v6 :: v_dual_mov_b32 v11, v2
	s_add_nc_u64 s[54:55], s[10:11], s[42:43]
	v_mov_b32_e32 v15, v2
	s_xor_b64 s[54:55], s[54:55], s[42:43]
	s_delay_alu instid0(VALU_DEP_2) | instskip(SKIP_4) | instid1(SALU_CYCLE_1)
	v_add_nc_u64_e32 v[8:9], v[4:5], v[6:7]
	s_cvt_f32_u32 s0, s54
	s_cvt_f32_u32 s2, s55
	s_sub_nc_u64 s[58:59], 0, s[54:55]
	v_mov_b32_e32 v19, v2
	s_fmamk_f32 s0, s2, 0x4f800000, s0
	s_delay_alu instid0(VALU_DEP_2) | instskip(SKIP_1) | instid1(SALU_CYCLE_1)
	v_xor_b32_e32 v10, v8, v6
	v_xor_b32_e32 v14, v9, v6
	v_s_rcp_f32 s0, s0
	s_delay_alu instid0(TRANS32_DEP_1) | instskip(NEXT) | instid1(SALU_CYCLE_3)
	s_mul_f32 s0, s0, 0x5f7ffffc
	s_mul_f32 s2, s0, 0x2f800000
	s_delay_alu instid0(SALU_CYCLE_3) | instskip(NEXT) | instid1(SALU_CYCLE_3)
	s_trunc_f32 s2, s2
	s_fmamk_f32 s0, s2, 0xcf800000, s0
	s_cvt_u32_f32 s57, s2
	s_delay_alu instid0(SALU_CYCLE_2) | instskip(NEXT) | instid1(SALU_CYCLE_3)
	s_cvt_u32_f32 s56, s0
	s_mul_u64 s[60:61], s[58:59], s[56:57]
	s_delay_alu instid0(SALU_CYCLE_1)
	s_mul_hi_u32 s63, s56, s61
	s_mul_i32 s62, s56, s61
	s_mul_hi_u32 s2, s56, s60
	s_mul_i32 s43, s57, s60
	s_add_nc_u64 s[62:63], s[2:3], s[62:63]
	s_mul_hi_u32 s0, s57, s60
	s_mul_hi_u32 s64, s57, s61
	s_add_co_u32 s2, s62, s43
	s_add_co_ci_u32 s2, s63, s0
	s_mul_i32 s60, s57, s61
	s_add_co_ci_u32 s61, s64, 0
	s_delay_alu instid0(SALU_CYCLE_1) | instskip(NEXT) | instid1(SALU_CYCLE_1)
	s_add_nc_u64 s[60:61], s[2:3], s[60:61]
	s_add_co_u32 s56, s56, s60
	s_cselect_b32 s0, -1, 0
	s_delay_alu instid0(SALU_CYCLE_1) | instskip(SKIP_1) | instid1(SALU_CYCLE_1)
	s_cmp_lg_u32 s0, 0
	s_add_co_ci_u32 s57, s57, s61
	s_mul_u64 s[58:59], s[58:59], s[56:57]
	s_delay_alu instid0(SALU_CYCLE_1)
	s_mul_hi_u32 s61, s56, s59
	s_mul_i32 s60, s56, s59
	s_mul_hi_u32 s2, s56, s58
	s_mul_i32 s43, s57, s58
	s_add_nc_u64 s[60:61], s[2:3], s[60:61]
	s_mul_hi_u32 s0, s57, s58
	s_mul_hi_u32 s62, s57, s59
	s_add_co_u32 s2, s60, s43
	s_add_co_ci_u32 s2, s61, s0
	s_mul_i32 s58, s57, s59
	s_add_co_ci_u32 s59, s62, 0
	s_delay_alu instid0(SALU_CYCLE_1) | instskip(NEXT) | instid1(SALU_CYCLE_1)
	s_add_nc_u64 s[58:59], s[2:3], s[58:59]
	s_add_co_u32 s0, s56, s58
	s_cselect_b32 s2, -1, 0
	v_nop
	v_mul_hi_u32 v18, v10, s0
	s_cmp_lg_u32 s2, 0
	s_add_co_ci_u32 s2, s57, s59
	s_and_b64 s[56:57], s[0:1], s[34:35]
	v_mul_u64_e32 v[12:13], s[2:3], v[10:11]
	v_mul_u64_e32 v[8:9], s[56:57], v[14:15]
	;; [unrolled: 1-line block ×3, first 2 shown]
	s_delay_alu instid0(VALU_DEP_3) | instskip(NEXT) | instid1(VALU_DEP_1)
	v_add_nc_u64_e32 v[12:13], v[18:19], v[12:13]
	v_add_co_u32 v3, vcc_lo, v12, v8
	s_delay_alu instid0(VALU_DEP_2) | instskip(NEXT) | instid1(VALU_DEP_4)
	v_add_co_ci_u32_e32 v18, vcc_lo, v13, v9, vcc_lo
	v_add_co_ci_u32_e32 v17, vcc_lo, 0, v17, vcc_lo
	s_delay_alu instid0(VALU_DEP_1) | instskip(NEXT) | instid1(VALU_DEP_1)
	v_add_nc_u64_e32 v[8:9], v[18:19], v[16:17]
	v_mul_u64_e32 v[12:13], s[54:55], v[8:9]
	s_delay_alu instid0(VALU_DEP_1) | instskip(NEXT) | instid1(VALU_DEP_2)
	v_sub_nc_u32_e32 v3, v14, v13
	v_sub_co_u32 v7, vcc_lo, v10, v12
	s_delay_alu instid0(VALU_DEP_1) | instskip(NEXT) | instid1(VALU_DEP_3)
	v_sub_co_ci_u32_e64 v14, null, v14, v13, vcc_lo
	v_subrev_co_ci_u32_e64 v3, null, s55, v3, vcc_lo
	s_delay_alu instid0(VALU_DEP_3) | instskip(SKIP_1) | instid1(VALU_DEP_3)
	v_sub_co_u32 v10, s0, v7, s54
	v_add_nc_u64_e32 v[12:13], 1, v[8:9]
	v_subrev_co_ci_u32_e64 v3, null, 0, v3, s0
	s_delay_alu instid0(VALU_DEP_3) | instskip(SKIP_1) | instid1(VALU_DEP_3)
	v_cmp_le_u32_e32 vcc_lo, s54, v10
	v_cndmask_b32_e64 v10, 0, -1, vcc_lo
	v_cmp_le_u32_e32 vcc_lo, s55, v3
	v_cndmask_b32_e64 v11, 0, -1, vcc_lo
	;; [unrolled: 2-line block ×4, first 2 shown]
	v_cmp_eq_u32_e32 vcc_lo, s55, v3
	v_cndmask_b32_e32 v3, v11, v10, vcc_lo
	v_cmp_eq_u32_e32 vcc_lo, s55, v14
	v_add_nc_u64_e32 v[10:11], 2, v[8:9]
	v_cndmask_b32_e32 v7, v15, v7, vcc_lo
	s_delay_alu instid0(VALU_DEP_4) | instskip(NEXT) | instid1(VALU_DEP_2)
	v_cmp_ne_u32_e32 vcc_lo, 0, v3
	v_cmp_ne_u32_e64 s0, 0, v7
	s_delay_alu instid0(VALU_DEP_4) | instskip(NEXT) | instid1(VALU_DEP_1)
	v_dual_cndmask_b32 v3, v13, v11, vcc_lo :: v_dual_cndmask_b32 v7, v12, v10, vcc_lo
	v_dual_cndmask_b32 v3, v9, v3, s0 :: v_dual_bitop2_b32 v10, s42, v6 bitop3:0x14
	s_delay_alu instid0(VALU_DEP_1) | instskip(NEXT) | instid1(VALU_DEP_2)
	v_dual_mov_b32 v11, v10 :: v_dual_cndmask_b32 v7, v8, v7, s0
	v_xor_b32_e32 v9, v3, v10
	s_delay_alu instid0(VALU_DEP_2) | instskip(NEXT) | instid1(VALU_DEP_1)
	v_xor_b32_e32 v8, v7, v10
	v_sub_nc_u64_e32 v[12:13], v[8:9], v[10:11]
.LBB15_6:                               ;   in Loop: Header=BB15_4 Depth=1
	s_and_not1_saveexec_b32 s0, s1
	s_cbranch_execz .LBB15_8
; %bb.7:                                ;   in Loop: Header=BB15_4 Depth=1
	s_sub_co_i32 s1, 0, s10
	v_mov_b32_e32 v13, v2
	v_mul_lo_u32 v3, s1, v32
	s_delay_alu instid0(VALU_DEP_1) | instskip(NEXT) | instid1(VALU_DEP_1)
	v_mul_hi_u32 v3, v32, v3
	v_add_nc_u32_e32 v3, v32, v3
	s_delay_alu instid0(VALU_DEP_1) | instskip(NEXT) | instid1(VALU_DEP_1)
	v_mul_hi_u32 v3, v4, v3
	v_mul_lo_u32 v7, v3, s10
	v_add_nc_u32_e32 v8, 1, v3
	s_delay_alu instid0(VALU_DEP_2) | instskip(NEXT) | instid1(VALU_DEP_1)
	v_sub_nc_u32_e32 v7, v4, v7
	v_cmp_le_u32_e32 vcc_lo, s10, v7
	s_delay_alu instid0(VALU_DEP_3) | instskip(SKIP_1) | instid1(VALU_DEP_1)
	v_cndmask_b32_e32 v3, v3, v8, vcc_lo
	v_subrev_nc_u32_e32 v9, s10, v7
	v_dual_cndmask_b32 v7, v7, v9 :: v_dual_add_nc_u32 v8, 1, v3
	s_delay_alu instid0(VALU_DEP_1) | instskip(NEXT) | instid1(VALU_DEP_2)
	v_cmp_le_u32_e32 vcc_lo, s10, v7
	v_cndmask_b32_e32 v12, v3, v8, vcc_lo
.LBB15_8:                               ;   in Loop: Header=BB15_4 Depth=1
	s_or_b32 exec_lo, exec_lo, s0
	s_delay_alu instid0(VALU_DEP_1) | instskip(SKIP_1) | instid1(VALU_DEP_1)
	v_or_b32_e32 v3, s9, v13
                                        ; implicit-def: $vgpr8_vgpr9
	s_mov_b32 s0, exec_lo
	v_cmpx_ne_u64_e32 0, v[2:3]
	s_xor_b32 s1, exec_lo, s0
	s_cbranch_execz .LBB15_10
; %bb.9:                                ;   in Loop: Header=BB15_4 Depth=1
	s_ashr_i32 s54, s9, 31
	v_dual_mov_b32 v15, v2 :: v_dual_ashrrev_i32 v8, 31, v13
	s_mov_b32 s55, s54
	v_mov_b32_e32 v23, v2
	s_add_nc_u64 s[56:57], s[8:9], s[54:55]
	s_delay_alu instid0(VALU_DEP_2) | instskip(SKIP_1) | instid1(SALU_CYCLE_1)
	v_mov_b32_e32 v9, v8
	s_xor_b64 s[54:55], s[56:57], s[54:55]
	s_cvt_f32_u32 s0, s54
	s_cvt_f32_u32 s2, s55
	s_sub_nc_u64 s[58:59], 0, s[54:55]
	v_add_nc_u64_e32 v[10:11], v[12:13], v[8:9]
	v_mov_b32_e32 v19, v2
	s_fmamk_f32 s0, s2, 0x4f800000, s0
	s_delay_alu instid0(SALU_CYCLE_3) | instskip(NEXT) | instid1(VALU_DEP_2)
	v_s_rcp_f32 s0, s0
	v_xor_b32_e32 v14, v10, v8
	s_delay_alu instid0(VALU_DEP_3) | instskip(NEXT) | instid1(TRANS32_DEP_1)
	v_xor_b32_e32 v18, v11, v8
	s_mul_f32 s0, s0, 0x5f7ffffc
	s_delay_alu instid0(SALU_CYCLE_3) | instskip(NEXT) | instid1(SALU_CYCLE_3)
	s_mul_f32 s2, s0, 0x2f800000
	s_trunc_f32 s2, s2
	s_delay_alu instid0(SALU_CYCLE_3) | instskip(SKIP_1) | instid1(SALU_CYCLE_2)
	s_fmamk_f32 s0, s2, 0xcf800000, s0
	s_cvt_u32_f32 s57, s2
	s_cvt_u32_f32 s56, s0
	s_delay_alu instid0(SALU_CYCLE_3) | instskip(NEXT) | instid1(SALU_CYCLE_1)
	s_mul_u64 s[60:61], s[58:59], s[56:57]
	s_mul_hi_u32 s63, s56, s61
	s_mul_i32 s62, s56, s61
	s_mul_hi_u32 s2, s56, s60
	s_mul_i32 s43, s57, s60
	s_add_nc_u64 s[62:63], s[2:3], s[62:63]
	s_mul_hi_u32 s0, s57, s60
	s_mul_hi_u32 s64, s57, s61
	s_add_co_u32 s2, s62, s43
	s_add_co_ci_u32 s2, s63, s0
	s_mul_i32 s60, s57, s61
	s_add_co_ci_u32 s61, s64, 0
	s_delay_alu instid0(SALU_CYCLE_1) | instskip(NEXT) | instid1(SALU_CYCLE_1)
	s_add_nc_u64 s[60:61], s[2:3], s[60:61]
	s_add_co_u32 s56, s56, s60
	s_cselect_b32 s0, -1, 0
	s_delay_alu instid0(SALU_CYCLE_1) | instskip(SKIP_1) | instid1(SALU_CYCLE_1)
	s_cmp_lg_u32 s0, 0
	s_add_co_ci_u32 s57, s57, s61
	s_mul_u64 s[58:59], s[58:59], s[56:57]
	s_delay_alu instid0(SALU_CYCLE_1)
	s_mul_hi_u32 s61, s56, s59
	s_mul_i32 s60, s56, s59
	s_mul_hi_u32 s2, s56, s58
	s_mul_i32 s43, s57, s58
	s_add_nc_u64 s[60:61], s[2:3], s[60:61]
	s_mul_hi_u32 s0, s57, s58
	s_mul_hi_u32 s62, s57, s59
	s_add_co_u32 s2, s60, s43
	s_add_co_ci_u32 s2, s61, s0
	s_mul_i32 s58, s57, s59
	s_add_co_ci_u32 s59, s62, 0
	s_delay_alu instid0(SALU_CYCLE_1) | instskip(NEXT) | instid1(SALU_CYCLE_1)
	s_add_nc_u64 s[58:59], s[2:3], s[58:59]
	s_add_co_u32 s0, s56, s58
	s_cselect_b32 s2, -1, 0
	v_mul_hi_u32 v22, v14, s0
	s_cmp_lg_u32 s2, 0
	s_add_co_ci_u32 s2, s57, s59
	s_and_b64 s[56:57], s[0:1], s[34:35]
	v_mul_u64_e32 v[16:17], s[2:3], v[14:15]
	v_mul_u64_e32 v[10:11], s[56:57], v[18:19]
	;; [unrolled: 1-line block ×3, first 2 shown]
	s_delay_alu instid0(VALU_DEP_3) | instskip(NEXT) | instid1(VALU_DEP_1)
	v_add_nc_u64_e32 v[16:17], v[22:23], v[16:17]
	v_add_co_u32 v3, vcc_lo, v16, v10
	s_delay_alu instid0(VALU_DEP_2) | instskip(NEXT) | instid1(VALU_DEP_4)
	v_add_co_ci_u32_e32 v22, vcc_lo, v17, v11, vcc_lo
	v_add_co_ci_u32_e32 v21, vcc_lo, 0, v21, vcc_lo
	s_delay_alu instid0(VALU_DEP_1) | instskip(NEXT) | instid1(VALU_DEP_1)
	v_add_nc_u64_e32 v[10:11], v[22:23], v[20:21]
	v_mul_u64_e32 v[10:11], s[54:55], v[10:11]
	s_delay_alu instid0(VALU_DEP_1) | instskip(NEXT) | instid1(VALU_DEP_2)
	v_sub_nc_u32_e32 v3, v18, v11
	v_sub_co_u32 v7, vcc_lo, v14, v10
	s_delay_alu instid0(VALU_DEP_1) | instskip(NEXT) | instid1(VALU_DEP_3)
	v_sub_co_ci_u32_e64 v10, null, v18, v11, vcc_lo
	v_subrev_co_ci_u32_e64 v3, null, s55, v3, vcc_lo
	s_delay_alu instid0(VALU_DEP_3) | instskip(SKIP_1) | instid1(VALU_DEP_3)
	v_sub_co_u32 v11, vcc_lo, v7, s54
	v_cmp_le_u32_e64 s0, s54, v7
	v_subrev_co_ci_u32_e64 v14, null, 0, v3, vcc_lo
	v_subrev_co_ci_u32_e64 v3, null, s55, v3, vcc_lo
	s_delay_alu instid0(VALU_DEP_3) | instskip(SKIP_2) | instid1(VALU_DEP_2)
	v_cndmask_b32_e64 v15, 0, -1, s0
	v_cmp_le_u32_e64 s0, s54, v11
	v_cmp_le_u32_e32 vcc_lo, s55, v10
	v_cndmask_b32_e64 v16, 0, -1, s0
	v_cmp_le_u32_e64 s0, s55, v14
	v_cndmask_b32_e64 v18, 0, -1, vcc_lo
	v_cmp_eq_u32_e32 vcc_lo, s55, v14
	s_delay_alu instid0(VALU_DEP_3) | instskip(SKIP_1) | instid1(VALU_DEP_2)
	v_cndmask_b32_e64 v17, 0, -1, s0
	v_cmp_eq_u32_e64 s0, s55, v10
	v_cndmask_b32_e32 v16, v17, v16, vcc_lo
	v_sub_co_u32 v17, vcc_lo, v11, s54
	s_delay_alu instid0(VALU_DEP_1) | instskip(NEXT) | instid1(VALU_DEP_3)
	v_subrev_co_ci_u32_e64 v3, null, 0, v3, vcc_lo
	v_cmp_ne_u32_e32 vcc_lo, 0, v16
	v_cndmask_b32_e64 v15, v18, v15, s0
	s_delay_alu instid0(VALU_DEP_3) | instskip(NEXT) | instid1(VALU_DEP_2)
	v_dual_cndmask_b32 v3, v14, v3, vcc_lo :: v_dual_cndmask_b32 v11, v11, v17, vcc_lo
	v_cmp_ne_u32_e32 vcc_lo, 0, v15
	s_delay_alu instid0(VALU_DEP_2) | instskip(NEXT) | instid1(VALU_DEP_3)
	v_cndmask_b32_e32 v3, v10, v3, vcc_lo
	v_cndmask_b32_e32 v7, v7, v11, vcc_lo
	s_delay_alu instid0(VALU_DEP_2) | instskip(NEXT) | instid1(VALU_DEP_2)
	v_xor_b32_e32 v11, v3, v8
	v_xor_b32_e32 v10, v7, v8
	s_delay_alu instid0(VALU_DEP_1)
	v_sub_nc_u64_e32 v[8:9], v[10:11], v[8:9]
.LBB15_10:                              ;   in Loop: Header=BB15_4 Depth=1
	s_and_not1_saveexec_b32 s0, s1
	s_cbranch_execz .LBB15_12
; %bb.11:                               ;   in Loop: Header=BB15_4 Depth=1
	v_cvt_f32_u32_e32 v3, s8
	s_sub_co_i32 s1, 0, s8
	v_mov_b32_e32 v9, v2
	s_delay_alu instid0(VALU_DEP_2) | instskip(SKIP_1) | instid1(TRANS32_DEP_1)
	v_rcp_iflag_f32_e32 v3, v3
	v_nop
	v_mul_f32_e32 v3, 0x4f7ffffe, v3
	s_delay_alu instid0(VALU_DEP_1) | instskip(NEXT) | instid1(VALU_DEP_1)
	v_cvt_u32_f32_e32 v3, v3
	v_mul_lo_u32 v7, s1, v3
	s_delay_alu instid0(VALU_DEP_1) | instskip(NEXT) | instid1(VALU_DEP_1)
	v_mul_hi_u32 v7, v3, v7
	v_add_nc_u32_e32 v3, v3, v7
	s_delay_alu instid0(VALU_DEP_1) | instskip(NEXT) | instid1(VALU_DEP_1)
	v_mul_hi_u32 v3, v12, v3
	v_mul_lo_u32 v3, v3, s8
	s_delay_alu instid0(VALU_DEP_1) | instskip(NEXT) | instid1(VALU_DEP_1)
	v_sub_nc_u32_e32 v3, v12, v3
	v_subrev_nc_u32_e32 v7, s8, v3
	v_cmp_le_u32_e32 vcc_lo, s8, v3
	s_delay_alu instid0(VALU_DEP_2) | instskip(NEXT) | instid1(VALU_DEP_1)
	v_cndmask_b32_e32 v3, v3, v7, vcc_lo
	v_subrev_nc_u32_e32 v7, s8, v3
	v_cmp_le_u32_e32 vcc_lo, s8, v3
	s_delay_alu instid0(VALU_DEP_2)
	v_cndmask_b32_e32 v8, v3, v7, vcc_lo
.LBB15_12:                              ;   in Loop: Header=BB15_4 Depth=1
	s_or_b32 exec_lo, exec_lo, s0
	v_or_b32_e32 v3, s29, v5
                                        ; implicit-def: $vgpr10_vgpr11
	s_mov_b32 s0, exec_lo
	s_delay_alu instid0(VALU_DEP_1)
	v_cmpx_ne_u64_e32 0, v[2:3]
	s_xor_b32 s1, exec_lo, s0
	s_cbranch_execz .LBB15_14
; %bb.13:                               ;   in Loop: Header=BB15_4 Depth=1
	s_ashr_i32 s54, s29, 31
	v_dual_mov_b32 v7, v6 :: v_dual_mov_b32 v15, v2
	s_mov_b32 s55, s54
	v_mov_b32_e32 v23, v2
	s_add_nc_u64 s[56:57], s[28:29], s[54:55]
	s_delay_alu instid0(VALU_DEP_2)
	v_add_nc_u64_e32 v[10:11], v[4:5], v[6:7]
	s_xor_b64 s[56:57], s[56:57], s[54:55]
	v_mov_b32_e32 v19, v2
	s_cvt_f32_u32 s0, s56
	s_cvt_f32_u32 s2, s57
	s_sub_nc_u64 s[60:61], 0, s[56:57]
	s_delay_alu instid0(VALU_DEP_2) | instskip(NEXT) | instid1(SALU_CYCLE_1)
	v_xor_b32_e32 v14, v10, v6
	s_fmamk_f32 s0, s2, 0x4f800000, s0
	v_xor_b32_e32 v18, v11, v6
	v_xor_b32_e32 v6, s54, v6
	s_delay_alu instid0(SALU_CYCLE_1) | instskip(NEXT) | instid1(TRANS32_DEP_1)
	v_s_rcp_f32 s0, s0
	s_mul_f32 s0, s0, 0x5f7ffffc
	s_delay_alu instid0(SALU_CYCLE_3) | instskip(NEXT) | instid1(SALU_CYCLE_3)
	s_mul_f32 s2, s0, 0x2f800000
	s_trunc_f32 s2, s2
	s_delay_alu instid0(SALU_CYCLE_3) | instskip(SKIP_1) | instid1(SALU_CYCLE_2)
	s_fmamk_f32 s0, s2, 0xcf800000, s0
	s_cvt_u32_f32 s59, s2
	s_cvt_u32_f32 s58, s0
	s_delay_alu instid0(SALU_CYCLE_3) | instskip(NEXT) | instid1(SALU_CYCLE_1)
	s_mul_u64 s[62:63], s[60:61], s[58:59]
	s_mul_hi_u32 s65, s58, s63
	s_mul_i32 s64, s58, s63
	s_mul_hi_u32 s2, s58, s62
	s_mul_i32 s43, s59, s62
	s_add_nc_u64 s[64:65], s[2:3], s[64:65]
	s_mul_hi_u32 s0, s59, s62
	s_mul_hi_u32 s55, s59, s63
	s_add_co_u32 s2, s64, s43
	s_add_co_ci_u32 s2, s65, s0
	s_mul_i32 s62, s59, s63
	s_add_co_ci_u32 s63, s55, 0
	s_delay_alu instid0(SALU_CYCLE_1) | instskip(NEXT) | instid1(SALU_CYCLE_1)
	s_add_nc_u64 s[62:63], s[2:3], s[62:63]
	s_add_co_u32 s58, s58, s62
	s_cselect_b32 s0, -1, 0
	s_delay_alu instid0(SALU_CYCLE_1) | instskip(SKIP_1) | instid1(SALU_CYCLE_1)
	s_cmp_lg_u32 s0, 0
	s_add_co_ci_u32 s59, s59, s63
	s_mul_u64 s[60:61], s[60:61], s[58:59]
	s_delay_alu instid0(SALU_CYCLE_1)
	s_mul_hi_u32 s63, s58, s61
	s_mul_i32 s62, s58, s61
	s_mul_hi_u32 s2, s58, s60
	s_mul_i32 s43, s59, s60
	s_add_nc_u64 s[62:63], s[2:3], s[62:63]
	s_mul_hi_u32 s0, s59, s60
	s_mul_hi_u32 s55, s59, s61
	s_add_co_u32 s2, s62, s43
	s_add_co_ci_u32 s2, s63, s0
	s_mul_i32 s60, s59, s61
	s_add_co_ci_u32 s61, s55, 0
	s_delay_alu instid0(SALU_CYCLE_1) | instskip(NEXT) | instid1(SALU_CYCLE_1)
	s_add_nc_u64 s[60:61], s[2:3], s[60:61]
	s_add_co_u32 s0, s58, s60
	s_cselect_b32 s2, -1, 0
	v_nop
	v_mul_hi_u32 v22, v14, s0
	s_cmp_lg_u32 s2, 0
	s_add_co_ci_u32 s2, s59, s61
	s_and_b64 s[58:59], s[0:1], s[34:35]
	v_mul_u64_e32 v[16:17], s[2:3], v[14:15]
	v_mul_u64_e32 v[10:11], s[58:59], v[18:19]
	;; [unrolled: 1-line block ×3, first 2 shown]
	s_delay_alu instid0(VALU_DEP_3) | instskip(NEXT) | instid1(VALU_DEP_1)
	v_add_nc_u64_e32 v[16:17], v[22:23], v[16:17]
	v_add_co_u32 v3, vcc_lo, v16, v10
	s_delay_alu instid0(VALU_DEP_2) | instskip(NEXT) | instid1(VALU_DEP_4)
	v_add_co_ci_u32_e32 v22, vcc_lo, v17, v11, vcc_lo
	v_add_co_ci_u32_e32 v21, vcc_lo, 0, v21, vcc_lo
	s_delay_alu instid0(VALU_DEP_1) | instskip(NEXT) | instid1(VALU_DEP_1)
	v_add_nc_u64_e32 v[10:11], v[22:23], v[20:21]
	v_mul_u64_e32 v[16:17], s[56:57], v[10:11]
	s_delay_alu instid0(VALU_DEP_1) | instskip(NEXT) | instid1(VALU_DEP_2)
	v_sub_nc_u32_e32 v3, v18, v17
	v_sub_co_u32 v7, vcc_lo, v14, v16
	s_delay_alu instid0(VALU_DEP_1) | instskip(NEXT) | instid1(VALU_DEP_3)
	v_sub_co_ci_u32_e64 v18, null, v18, v17, vcc_lo
	v_subrev_co_ci_u32_e64 v3, null, s57, v3, vcc_lo
	s_delay_alu instid0(VALU_DEP_3) | instskip(SKIP_1) | instid1(VALU_DEP_3)
	v_sub_co_u32 v14, s0, v7, s56
	v_add_nc_u64_e32 v[16:17], 1, v[10:11]
	v_subrev_co_ci_u32_e64 v3, null, 0, v3, s0
	s_delay_alu instid0(VALU_DEP_3) | instskip(SKIP_1) | instid1(VALU_DEP_3)
	v_cmp_le_u32_e32 vcc_lo, s56, v14
	v_cndmask_b32_e64 v14, 0, -1, vcc_lo
	v_cmp_le_u32_e32 vcc_lo, s57, v3
	v_cndmask_b32_e64 v15, 0, -1, vcc_lo
	;; [unrolled: 2-line block ×4, first 2 shown]
	v_cmp_eq_u32_e32 vcc_lo, s57, v3
	v_cndmask_b32_e32 v3, v15, v14, vcc_lo
	v_cmp_eq_u32_e32 vcc_lo, s57, v18
	v_add_nc_u64_e32 v[14:15], 2, v[10:11]
	v_cndmask_b32_e32 v7, v19, v7, vcc_lo
	s_delay_alu instid0(VALU_DEP_4) | instskip(NEXT) | instid1(VALU_DEP_2)
	v_cmp_ne_u32_e32 vcc_lo, 0, v3
	v_cmp_ne_u32_e64 s0, 0, v7
	s_delay_alu instid0(VALU_DEP_4) | instskip(NEXT) | instid1(VALU_DEP_1)
	v_dual_cndmask_b32 v3, v17, v15, vcc_lo :: v_dual_cndmask_b32 v7, v16, v14, vcc_lo
	v_cndmask_b32_e64 v3, v11, v3, s0
	s_delay_alu instid0(VALU_DEP_2) | instskip(NEXT) | instid1(VALU_DEP_2)
	v_cndmask_b32_e64 v10, v10, v7, s0
	v_dual_mov_b32 v7, v6 :: v_dual_bitop2_b32 v11, v3, v6 bitop3:0x14
	s_delay_alu instid0(VALU_DEP_2) | instskip(NEXT) | instid1(VALU_DEP_1)
	v_xor_b32_e32 v10, v10, v6
	v_sub_nc_u64_e32 v[10:11], v[10:11], v[6:7]
.LBB15_14:                              ;   in Loop: Header=BB15_4 Depth=1
	s_and_not1_saveexec_b32 s0, s1
	s_cbranch_execz .LBB15_16
; %bb.15:                               ;   in Loop: Header=BB15_4 Depth=1
	v_cvt_f32_u32_e32 v3, s28
	s_sub_co_i32 s1, 0, s28
	v_mov_b32_e32 v11, v2
	s_delay_alu instid0(VALU_DEP_2) | instskip(SKIP_1) | instid1(TRANS32_DEP_1)
	v_rcp_iflag_f32_e32 v3, v3
	v_nop
	v_mul_f32_e32 v3, 0x4f7ffffe, v3
	s_delay_alu instid0(VALU_DEP_1) | instskip(NEXT) | instid1(VALU_DEP_1)
	v_cvt_u32_f32_e32 v3, v3
	v_mul_lo_u32 v6, s1, v3
	s_delay_alu instid0(VALU_DEP_1) | instskip(NEXT) | instid1(VALU_DEP_1)
	v_mul_hi_u32 v6, v3, v6
	v_add_nc_u32_e32 v3, v3, v6
	s_delay_alu instid0(VALU_DEP_1) | instskip(NEXT) | instid1(VALU_DEP_1)
	v_mul_hi_u32 v3, v0, v3
	v_mul_lo_u32 v6, v3, s28
	s_delay_alu instid0(VALU_DEP_1) | instskip(NEXT) | instid1(VALU_DEP_1)
	v_sub_nc_u32_e32 v6, v0, v6
	v_subrev_nc_u32_e32 v10, s28, v6
	v_cmp_le_u32_e32 vcc_lo, s28, v6
	s_delay_alu instid0(VALU_DEP_2) | instskip(NEXT) | instid1(VALU_DEP_1)
	v_dual_cndmask_b32 v6, v6, v10 :: v_dual_add_nc_u32 v7, 1, v3
	v_cndmask_b32_e32 v3, v3, v7, vcc_lo
	s_delay_alu instid0(VALU_DEP_2) | instskip(NEXT) | instid1(VALU_DEP_2)
	v_cmp_le_u32_e32 vcc_lo, s28, v6
	v_add_nc_u32_e32 v7, 1, v3
	s_delay_alu instid0(VALU_DEP_1)
	v_cndmask_b32_e32 v10, v3, v7, vcc_lo
.LBB15_16:                              ;   in Loop: Header=BB15_4 Depth=1
	s_or_b32 exec_lo, exec_lo, s0
	v_mul_u64_e32 v[12:13], s[10:11], v[12:13]
	s_mov_b32 s1, exec_lo
	s_delay_alu instid0(VALU_DEP_1) | instskip(NEXT) | instid1(VALU_DEP_1)
	v_sub_nc_u64_e32 v[6:7], v[4:5], v[12:13]
	v_add_nc_u64_e32 v[14:15], s[18:19], v[6:7]
	v_mov_b64_e32 v[6:7], 0
	s_delay_alu instid0(VALU_DEP_2)
	v_cmpx_lt_i64_e64 s[44:45], v[14:15]
	s_cbranch_execz .LBB15_22
; %bb.17:                               ;   in Loop: Header=BB15_4 Depth=1
	v_add_nc_u64_e32 v[6:7], s[52:53], v[14:15]
                                        ; implicit-def: $vgpr16_vgpr17
	s_mov_b32 s0, exec_lo
	s_delay_alu instid0(VALU_DEP_1) | instskip(NEXT) | instid1(VALU_DEP_1)
	v_or_b32_e32 v3, s23, v7
	v_cmpx_ne_u64_e32 0, v[2:3]
	s_xor_b32 s43, exec_lo, s0
	s_cbranch_execz .LBB15_19
; %bb.18:                               ;   in Loop: Header=BB15_4 Depth=1
	s_ashr_i32 s54, s23, 31
	v_dual_mov_b32 v19, v2 :: v_dual_ashrrev_i32 v16, 31, v7
	s_mov_b32 s55, s54
	v_mov_b32_e32 v27, v2
	s_add_nc_u64 s[56:57], s[22:23], s[54:55]
	s_delay_alu instid0(VALU_DEP_2) | instskip(SKIP_1) | instid1(SALU_CYCLE_1)
	v_mov_b32_e32 v17, v16
	s_xor_b64 s[56:57], s[56:57], s[54:55]
	s_cvt_f32_u32 s0, s56
	s_cvt_f32_u32 s2, s57
	s_sub_nc_u64 s[60:61], 0, s[56:57]
	v_add_nc_u64_e32 v[6:7], v[6:7], v[16:17]
	v_mov_b32_e32 v23, v2
	s_fmamk_f32 s0, s2, 0x4f800000, s0
	s_delay_alu instid0(SALU_CYCLE_3) | instskip(NEXT) | instid1(VALU_DEP_2)
	v_s_rcp_f32 s0, s0
	v_xor_b32_e32 v18, v6, v16
	s_delay_alu instid0(VALU_DEP_3) | instskip(NEXT) | instid1(TRANS32_DEP_1)
	v_xor_b32_e32 v22, v7, v16
	s_mul_f32 s0, s0, 0x5f7ffffc
	s_delay_alu instid0(SALU_CYCLE_3) | instskip(NEXT) | instid1(SALU_CYCLE_3)
	s_mul_f32 s2, s0, 0x2f800000
	s_trunc_f32 s2, s2
	s_delay_alu instid0(SALU_CYCLE_3) | instskip(SKIP_1) | instid1(SALU_CYCLE_2)
	s_fmamk_f32 s0, s2, 0xcf800000, s0
	s_cvt_u32_f32 s59, s2
	s_cvt_u32_f32 s58, s0
	s_delay_alu instid0(SALU_CYCLE_3) | instskip(NEXT) | instid1(SALU_CYCLE_1)
	s_mul_u64 s[62:63], s[60:61], s[58:59]
	s_mul_hi_u32 s65, s58, s63
	s_mul_i32 s64, s58, s63
	s_mul_hi_u32 s2, s58, s62
	s_mul_i32 s55, s59, s62
	s_add_nc_u64 s[64:65], s[2:3], s[64:65]
	s_mul_hi_u32 s0, s59, s62
	s_mul_hi_u32 s66, s59, s63
	s_add_co_u32 s2, s64, s55
	s_add_co_ci_u32 s2, s65, s0
	s_mul_i32 s62, s59, s63
	s_add_co_ci_u32 s63, s66, 0
	s_delay_alu instid0(SALU_CYCLE_1) | instskip(NEXT) | instid1(SALU_CYCLE_1)
	s_add_nc_u64 s[62:63], s[2:3], s[62:63]
	s_add_co_u32 s58, s58, s62
	s_cselect_b32 s0, -1, 0
	s_delay_alu instid0(SALU_CYCLE_1) | instskip(SKIP_1) | instid1(SALU_CYCLE_1)
	s_cmp_lg_u32 s0, 0
	s_add_co_ci_u32 s59, s59, s63
	s_mul_u64 s[60:61], s[60:61], s[58:59]
	s_delay_alu instid0(SALU_CYCLE_1)
	s_mul_hi_u32 s63, s58, s61
	s_mul_i32 s62, s58, s61
	s_mul_hi_u32 s2, s58, s60
	s_mul_i32 s55, s59, s60
	s_add_nc_u64 s[62:63], s[2:3], s[62:63]
	s_mul_hi_u32 s0, s59, s60
	s_mul_hi_u32 s64, s59, s61
	s_add_co_u32 s2, s62, s55
	s_add_co_ci_u32 s2, s63, s0
	s_mul_i32 s60, s59, s61
	s_add_co_ci_u32 s61, s64, 0
	s_delay_alu instid0(SALU_CYCLE_1) | instskip(NEXT) | instid1(SALU_CYCLE_1)
	s_add_nc_u64 s[60:61], s[2:3], s[60:61]
	s_add_co_u32 s0, s58, s60
	s_cselect_b32 s2, -1, 0
	v_mul_hi_u32 v26, v18, s0
	s_cmp_lg_u32 s2, 0
	s_add_co_ci_u32 s2, s59, s61
	s_and_b64 s[58:59], s[0:1], s[34:35]
	v_mul_u64_e32 v[20:21], s[2:3], v[18:19]
	v_mul_u64_e32 v[6:7], s[58:59], v[22:23]
	;; [unrolled: 1-line block ×3, first 2 shown]
	s_delay_alu instid0(VALU_DEP_3) | instskip(NEXT) | instid1(VALU_DEP_1)
	v_add_nc_u64_e32 v[20:21], v[26:27], v[20:21]
	v_add_co_u32 v3, vcc_lo, v20, v6
	s_delay_alu instid0(VALU_DEP_2) | instskip(NEXT) | instid1(VALU_DEP_4)
	v_add_co_ci_u32_e32 v26, vcc_lo, v21, v7, vcc_lo
	v_add_co_ci_u32_e32 v25, vcc_lo, 0, v25, vcc_lo
	s_delay_alu instid0(VALU_DEP_1) | instskip(NEXT) | instid1(VALU_DEP_1)
	v_add_nc_u64_e32 v[6:7], v[26:27], v[24:25]
	v_mul_u64_e32 v[20:21], s[56:57], v[6:7]
	s_delay_alu instid0(VALU_DEP_1) | instskip(NEXT) | instid1(VALU_DEP_2)
	v_sub_nc_u32_e32 v3, v22, v21
	v_sub_co_u32 v17, vcc_lo, v18, v20
	s_delay_alu instid0(VALU_DEP_1) | instskip(NEXT) | instid1(VALU_DEP_3)
	v_sub_co_ci_u32_e64 v22, null, v22, v21, vcc_lo
	v_subrev_co_ci_u32_e64 v3, null, s57, v3, vcc_lo
	s_delay_alu instid0(VALU_DEP_3) | instskip(SKIP_1) | instid1(VALU_DEP_3)
	v_sub_co_u32 v18, s0, v17, s56
	v_add_nc_u64_e32 v[20:21], 1, v[6:7]
	v_subrev_co_ci_u32_e64 v3, null, 0, v3, s0
	s_delay_alu instid0(VALU_DEP_3) | instskip(SKIP_1) | instid1(VALU_DEP_3)
	v_cmp_le_u32_e32 vcc_lo, s56, v18
	v_cndmask_b32_e64 v18, 0, -1, vcc_lo
	v_cmp_le_u32_e32 vcc_lo, s57, v3
	v_cndmask_b32_e64 v19, 0, -1, vcc_lo
	;; [unrolled: 2-line block ×4, first 2 shown]
	v_cmp_eq_u32_e32 vcc_lo, s57, v3
	v_cndmask_b32_e32 v3, v19, v18, vcc_lo
	v_cmp_eq_u32_e32 vcc_lo, s57, v22
	v_add_nc_u64_e32 v[18:19], 2, v[6:7]
	v_cndmask_b32_e32 v17, v23, v17, vcc_lo
	s_delay_alu instid0(VALU_DEP_4) | instskip(NEXT) | instid1(VALU_DEP_3)
	v_cmp_ne_u32_e32 vcc_lo, 0, v3
	v_cndmask_b32_e32 v3, v21, v19, vcc_lo
	s_delay_alu instid0(VALU_DEP_3) | instskip(SKIP_1) | instid1(VALU_DEP_1)
	v_cmp_ne_u32_e64 s0, 0, v17
	v_dual_cndmask_b32 v17, v20, v18, vcc_lo :: v_dual_bitop2_b32 v16, s54, v16 bitop3:0x14
	v_dual_cndmask_b32 v3, v7, v3, s0 :: v_dual_cndmask_b32 v6, v6, v17, s0
	s_delay_alu instid0(VALU_DEP_1) | instskip(NEXT) | instid1(VALU_DEP_2)
	v_dual_mov_b32 v17, v16 :: v_dual_bitop2_b32 v7, v3, v16 bitop3:0x14
	v_xor_b32_e32 v6, v6, v16
	s_delay_alu instid0(VALU_DEP_1)
	v_sub_nc_u64_e32 v[16:17], v[6:7], v[16:17]
                                        ; implicit-def: $vgpr6_vgpr7
.LBB15_19:                              ;   in Loop: Header=BB15_4 Depth=1
	s_and_not1_saveexec_b32 s0, s43
	s_cbranch_execz .LBB15_21
; %bb.20:                               ;   in Loop: Header=BB15_4 Depth=1
	v_cvt_f32_u32_e32 v3, s22
	s_sub_co_i32 s2, 0, s22
	v_mov_b32_e32 v17, v2
	s_delay_alu instid0(VALU_DEP_2) | instskip(SKIP_1) | instid1(TRANS32_DEP_1)
	v_rcp_iflag_f32_e32 v3, v3
	v_nop
	v_mul_f32_e32 v3, 0x4f7ffffe, v3
	s_delay_alu instid0(VALU_DEP_1) | instskip(NEXT) | instid1(VALU_DEP_1)
	v_cvt_u32_f32_e32 v3, v3
	v_mul_lo_u32 v7, s2, v3
	s_delay_alu instid0(VALU_DEP_1) | instskip(NEXT) | instid1(VALU_DEP_1)
	v_mul_hi_u32 v7, v3, v7
	v_add_nc_u32_e32 v3, v3, v7
	s_delay_alu instid0(VALU_DEP_1) | instskip(NEXT) | instid1(VALU_DEP_1)
	v_mul_hi_u32 v3, v6, v3
	v_mul_lo_u32 v7, v3, s22
	s_delay_alu instid0(VALU_DEP_1) | instskip(SKIP_1) | instid1(VALU_DEP_2)
	v_sub_nc_u32_e32 v6, v6, v7
	v_add_nc_u32_e32 v7, 1, v3
	v_subrev_nc_u32_e32 v16, s22, v6
	v_cmp_le_u32_e32 vcc_lo, s22, v6
	s_delay_alu instid0(VALU_DEP_2) | instskip(NEXT) | instid1(VALU_DEP_1)
	v_dual_cndmask_b32 v6, v6, v16 :: v_dual_cndmask_b32 v3, v3, v7
	v_cmp_le_u32_e32 vcc_lo, s22, v6
	s_delay_alu instid0(VALU_DEP_2) | instskip(NEXT) | instid1(VALU_DEP_1)
	v_add_nc_u32_e32 v7, 1, v3
	v_cndmask_b32_e32 v16, v3, v7, vcc_lo
.LBB15_21:                              ;   in Loop: Header=BB15_4 Depth=1
	s_or_b32 exec_lo, exec_lo, s0
	s_delay_alu instid0(VALU_DEP_1)
	v_add_nc_u64_e32 v[6:7], 1, v[16:17]
.LBB15_22:                              ;   in Loop: Header=BB15_4 Depth=1
	s_or_b32 exec_lo, exec_lo, s1
	v_or_b32_e32 v3, s23, v15
                                        ; implicit-def: $vgpr18_vgpr19
	s_mov_b32 s0, exec_lo
	s_delay_alu instid0(VALU_DEP_1)
	v_cmpx_ne_u64_e32 0, v[2:3]
	s_xor_b32 s1, exec_lo, s0
	s_cbranch_execz .LBB15_24
; %bb.23:                               ;   in Loop: Header=BB15_4 Depth=1
	s_ashr_i32 s54, s23, 31
	v_dual_mov_b32 v19, v2 :: v_dual_ashrrev_i32 v16, 31, v15
	s_mov_b32 s55, s54
	v_mov_b32_e32 v27, v2
	s_add_nc_u64 s[56:57], s[22:23], s[54:55]
	s_delay_alu instid0(VALU_DEP_2) | instskip(SKIP_1) | instid1(SALU_CYCLE_1)
	v_mov_b32_e32 v17, v16
	s_xor_b64 s[56:57], s[56:57], s[54:55]
	s_cvt_f32_u32 s0, s56
	s_cvt_f32_u32 s2, s57
	s_sub_nc_u64 s[60:61], 0, s[56:57]
	v_add_nc_u64_e32 v[14:15], v[14:15], v[16:17]
	v_mov_b32_e32 v23, v2
	s_fmamk_f32 s0, s2, 0x4f800000, s0
	s_delay_alu instid0(SALU_CYCLE_3) | instskip(NEXT) | instid1(VALU_DEP_2)
	v_s_rcp_f32 s0, s0
	v_xor_b32_e32 v18, v14, v16
	s_delay_alu instid0(VALU_DEP_3) | instskip(NEXT) | instid1(TRANS32_DEP_1)
	v_xor_b32_e32 v22, v15, v16
	s_mul_f32 s0, s0, 0x5f7ffffc
	s_delay_alu instid0(SALU_CYCLE_3) | instskip(NEXT) | instid1(SALU_CYCLE_3)
	s_mul_f32 s2, s0, 0x2f800000
	s_trunc_f32 s2, s2
	s_delay_alu instid0(SALU_CYCLE_3) | instskip(SKIP_1) | instid1(SALU_CYCLE_2)
	s_fmamk_f32 s0, s2, 0xcf800000, s0
	s_cvt_u32_f32 s59, s2
	s_cvt_u32_f32 s58, s0
	s_delay_alu instid0(SALU_CYCLE_3) | instskip(NEXT) | instid1(SALU_CYCLE_1)
	s_mul_u64 s[62:63], s[60:61], s[58:59]
	s_mul_hi_u32 s65, s58, s63
	s_mul_i32 s64, s58, s63
	s_mul_hi_u32 s2, s58, s62
	s_mul_i32 s43, s59, s62
	s_add_nc_u64 s[64:65], s[2:3], s[64:65]
	s_mul_hi_u32 s0, s59, s62
	s_mul_hi_u32 s55, s59, s63
	s_add_co_u32 s2, s64, s43
	s_add_co_ci_u32 s2, s65, s0
	s_mul_i32 s62, s59, s63
	s_add_co_ci_u32 s63, s55, 0
	s_delay_alu instid0(SALU_CYCLE_1) | instskip(NEXT) | instid1(SALU_CYCLE_1)
	s_add_nc_u64 s[62:63], s[2:3], s[62:63]
	s_add_co_u32 s58, s58, s62
	s_cselect_b32 s0, -1, 0
	s_delay_alu instid0(SALU_CYCLE_1) | instskip(SKIP_1) | instid1(SALU_CYCLE_1)
	s_cmp_lg_u32 s0, 0
	s_add_co_ci_u32 s59, s59, s63
	s_mul_u64 s[60:61], s[60:61], s[58:59]
	s_delay_alu instid0(SALU_CYCLE_1)
	s_mul_hi_u32 s63, s58, s61
	s_mul_i32 s62, s58, s61
	s_mul_hi_u32 s2, s58, s60
	s_mul_i32 s43, s59, s60
	s_add_nc_u64 s[62:63], s[2:3], s[62:63]
	s_mul_hi_u32 s0, s59, s60
	s_mul_hi_u32 s55, s59, s61
	s_add_co_u32 s2, s62, s43
	s_add_co_ci_u32 s2, s63, s0
	s_mul_i32 s60, s59, s61
	s_add_co_ci_u32 s61, s55, 0
	s_delay_alu instid0(SALU_CYCLE_1) | instskip(NEXT) | instid1(SALU_CYCLE_1)
	s_add_nc_u64 s[60:61], s[2:3], s[60:61]
	s_add_co_u32 s0, s58, s60
	s_cselect_b32 s2, -1, 0
	v_mul_hi_u32 v26, v18, s0
	s_cmp_lg_u32 s2, 0
	s_add_co_ci_u32 s2, s59, s61
	s_and_b64 s[58:59], s[0:1], s[34:35]
	v_mul_u64_e32 v[20:21], s[2:3], v[18:19]
	v_mul_u64_e32 v[14:15], s[58:59], v[22:23]
	;; [unrolled: 1-line block ×3, first 2 shown]
	s_delay_alu instid0(VALU_DEP_3) | instskip(NEXT) | instid1(VALU_DEP_1)
	v_add_nc_u64_e32 v[20:21], v[26:27], v[20:21]
	v_add_co_u32 v3, vcc_lo, v20, v14
	s_delay_alu instid0(VALU_DEP_2) | instskip(NEXT) | instid1(VALU_DEP_4)
	v_add_co_ci_u32_e32 v26, vcc_lo, v21, v15, vcc_lo
	v_add_co_ci_u32_e32 v25, vcc_lo, 0, v25, vcc_lo
	s_delay_alu instid0(VALU_DEP_1) | instskip(NEXT) | instid1(VALU_DEP_1)
	v_add_nc_u64_e32 v[14:15], v[26:27], v[24:25]
	v_mul_u64_e32 v[20:21], s[56:57], v[14:15]
	s_delay_alu instid0(VALU_DEP_1) | instskip(NEXT) | instid1(VALU_DEP_2)
	v_sub_nc_u32_e32 v3, v22, v21
	v_sub_co_u32 v17, vcc_lo, v18, v20
	s_delay_alu instid0(VALU_DEP_1) | instskip(NEXT) | instid1(VALU_DEP_3)
	v_sub_co_ci_u32_e64 v22, null, v22, v21, vcc_lo
	v_subrev_co_ci_u32_e64 v3, null, s57, v3, vcc_lo
	s_delay_alu instid0(VALU_DEP_3) | instskip(SKIP_1) | instid1(VALU_DEP_3)
	v_sub_co_u32 v18, s0, v17, s56
	v_add_nc_u64_e32 v[20:21], 1, v[14:15]
	v_subrev_co_ci_u32_e64 v3, null, 0, v3, s0
	s_delay_alu instid0(VALU_DEP_3) | instskip(SKIP_1) | instid1(VALU_DEP_3)
	v_cmp_le_u32_e32 vcc_lo, s56, v18
	v_cndmask_b32_e64 v18, 0, -1, vcc_lo
	v_cmp_le_u32_e32 vcc_lo, s57, v3
	v_cndmask_b32_e64 v19, 0, -1, vcc_lo
	;; [unrolled: 2-line block ×4, first 2 shown]
	v_cmp_eq_u32_e32 vcc_lo, s57, v3
	v_cndmask_b32_e32 v3, v19, v18, vcc_lo
	v_cmp_eq_u32_e32 vcc_lo, s57, v22
	v_add_nc_u64_e32 v[18:19], 2, v[14:15]
	v_cndmask_b32_e32 v17, v23, v17, vcc_lo
	s_delay_alu instid0(VALU_DEP_4) | instskip(NEXT) | instid1(VALU_DEP_3)
	v_cmp_ne_u32_e32 vcc_lo, 0, v3
	v_cndmask_b32_e32 v3, v21, v19, vcc_lo
	s_delay_alu instid0(VALU_DEP_3) | instskip(SKIP_1) | instid1(VALU_DEP_1)
	v_cmp_ne_u32_e64 s0, 0, v17
	v_dual_cndmask_b32 v17, v20, v18, vcc_lo :: v_dual_bitop2_b32 v16, s54, v16 bitop3:0x14
	v_dual_cndmask_b32 v3, v15, v3, s0 :: v_dual_cndmask_b32 v14, v14, v17, s0
	s_delay_alu instid0(VALU_DEP_1) | instskip(NEXT) | instid1(VALU_DEP_2)
	v_dual_mov_b32 v17, v16 :: v_dual_bitop2_b32 v15, v3, v16 bitop3:0x14
	v_xor_b32_e32 v14, v14, v16
	s_delay_alu instid0(VALU_DEP_1)
	v_sub_nc_u64_e32 v[18:19], v[14:15], v[16:17]
                                        ; implicit-def: $vgpr14_vgpr15
.LBB15_24:                              ;   in Loop: Header=BB15_4 Depth=1
	s_and_not1_saveexec_b32 s0, s1
	s_cbranch_execz .LBB15_26
; %bb.25:                               ;   in Loop: Header=BB15_4 Depth=1
	v_cvt_f32_u32_e32 v3, s22
	s_sub_co_i32 s1, 0, s22
	v_mov_b32_e32 v19, v2
	s_delay_alu instid0(VALU_DEP_2) | instskip(SKIP_1) | instid1(TRANS32_DEP_1)
	v_rcp_iflag_f32_e32 v3, v3
	v_nop
	v_mul_f32_e32 v3, 0x4f7ffffe, v3
	s_delay_alu instid0(VALU_DEP_1) | instskip(NEXT) | instid1(VALU_DEP_1)
	v_cvt_u32_f32_e32 v3, v3
	v_mul_lo_u32 v15, s1, v3
	s_delay_alu instid0(VALU_DEP_1) | instskip(NEXT) | instid1(VALU_DEP_1)
	v_mul_hi_u32 v15, v3, v15
	v_add_nc_u32_e32 v3, v3, v15
	s_delay_alu instid0(VALU_DEP_1) | instskip(NEXT) | instid1(VALU_DEP_1)
	v_mul_hi_u32 v3, v14, v3
	v_mul_lo_u32 v15, v3, s22
	s_delay_alu instid0(VALU_DEP_1) | instskip(SKIP_1) | instid1(VALU_DEP_2)
	v_sub_nc_u32_e32 v14, v14, v15
	v_add_nc_u32_e32 v15, 1, v3
	v_subrev_nc_u32_e32 v16, s22, v14
	v_cmp_le_u32_e32 vcc_lo, s22, v14
	s_delay_alu instid0(VALU_DEP_2) | instskip(NEXT) | instid1(VALU_DEP_1)
	v_dual_cndmask_b32 v14, v14, v16 :: v_dual_cndmask_b32 v3, v3, v15
	v_cmp_le_u32_e32 vcc_lo, s22, v14
	s_delay_alu instid0(VALU_DEP_2) | instskip(NEXT) | instid1(VALU_DEP_1)
	v_add_nc_u32_e32 v15, 1, v3
	v_cndmask_b32_e32 v18, v3, v15, vcc_lo
.LBB15_26:                              ;   in Loop: Header=BB15_4 Depth=1
	s_or_b32 exec_lo, exec_lo, s0
	v_add_nc_u64_e32 v[8:9], s[16:17], v[8:9]
	v_mov_b64_e32 v[14:15], 0
	s_mov_b32 s1, exec_lo
	s_delay_alu instid0(VALU_DEP_2)
	v_cmpx_lt_i64_e64 s[46:47], v[8:9]
	s_cbranch_execz .LBB15_32
; %bb.27:                               ;   in Loop: Header=BB15_4 Depth=1
	v_add_nc_u64_e32 v[14:15], s[50:51], v[8:9]
                                        ; implicit-def: $vgpr16_vgpr17
	s_mov_b32 s0, exec_lo
	s_delay_alu instid0(VALU_DEP_1) | instskip(NEXT) | instid1(VALU_DEP_1)
	v_or_b32_e32 v3, s21, v15
	v_cmpx_ne_u64_e32 0, v[2:3]
	s_xor_b32 s43, exec_lo, s0
	s_cbranch_execz .LBB15_29
; %bb.28:                               ;   in Loop: Header=BB15_4 Depth=1
	s_ashr_i32 s54, s21, 31
	v_dual_mov_b32 v21, v2 :: v_dual_ashrrev_i32 v16, 31, v15
	s_mov_b32 s55, s54
	s_delay_alu instid0(SALU_CYCLE_1) | instskip(NEXT) | instid1(VALU_DEP_1)
	s_add_nc_u64 s[56:57], s[20:21], s[54:55]
	v_mov_b32_e32 v17, v16
	s_xor_b64 s[56:57], s[56:57], s[54:55]
	s_delay_alu instid0(SALU_CYCLE_1)
	s_cvt_f32_u32 s0, s56
	s_cvt_f32_u32 s2, s57
	s_sub_nc_u64 s[60:61], 0, s[56:57]
	v_add_nc_u64_e32 v[14:15], v[14:15], v[16:17]
	v_mov_b32_e32 v25, v2
	s_fmamk_f32 s0, s2, 0x4f800000, s0
	s_delay_alu instid0(SALU_CYCLE_3) | instskip(NEXT) | instid1(VALU_DEP_2)
	v_s_rcp_f32 s0, s0
	v_xor_b32_e32 v20, v14, v16
	s_delay_alu instid0(VALU_DEP_3) | instskip(SKIP_1) | instid1(TRANS32_DEP_1)
	v_dual_mov_b32 v29, v2 :: v_dual_bitop2_b32 v24, v15, v16 bitop3:0x14
	v_xor_b32_e32 v16, s54, v16
	s_mul_f32 s0, s0, 0x5f7ffffc
	s_delay_alu instid0(SALU_CYCLE_3) | instskip(NEXT) | instid1(SALU_CYCLE_3)
	s_mul_f32 s2, s0, 0x2f800000
	s_trunc_f32 s2, s2
	s_delay_alu instid0(SALU_CYCLE_3) | instskip(SKIP_1) | instid1(SALU_CYCLE_2)
	s_fmamk_f32 s0, s2, 0xcf800000, s0
	s_cvt_u32_f32 s59, s2
	s_cvt_u32_f32 s58, s0
	s_delay_alu instid0(SALU_CYCLE_3) | instskip(NEXT) | instid1(SALU_CYCLE_1)
	s_mul_u64 s[62:63], s[60:61], s[58:59]
	s_mul_hi_u32 s65, s58, s63
	s_mul_i32 s64, s58, s63
	s_mul_hi_u32 s2, s58, s62
	s_mul_i32 s55, s59, s62
	s_add_nc_u64 s[64:65], s[2:3], s[64:65]
	s_mul_hi_u32 s0, s59, s62
	s_mul_hi_u32 s66, s59, s63
	s_add_co_u32 s2, s64, s55
	s_add_co_ci_u32 s2, s65, s0
	s_mul_i32 s62, s59, s63
	s_add_co_ci_u32 s63, s66, 0
	s_delay_alu instid0(SALU_CYCLE_1) | instskip(NEXT) | instid1(SALU_CYCLE_1)
	s_add_nc_u64 s[62:63], s[2:3], s[62:63]
	s_add_co_u32 s58, s58, s62
	s_cselect_b32 s0, -1, 0
	s_delay_alu instid0(SALU_CYCLE_1) | instskip(SKIP_1) | instid1(SALU_CYCLE_1)
	s_cmp_lg_u32 s0, 0
	s_add_co_ci_u32 s59, s59, s63
	s_mul_u64 s[60:61], s[60:61], s[58:59]
	s_delay_alu instid0(SALU_CYCLE_1)
	s_mul_hi_u32 s63, s58, s61
	s_mul_i32 s62, s58, s61
	s_mul_hi_u32 s2, s58, s60
	s_mul_i32 s55, s59, s60
	s_add_nc_u64 s[62:63], s[2:3], s[62:63]
	s_mul_hi_u32 s0, s59, s60
	s_mul_hi_u32 s64, s59, s61
	s_add_co_u32 s2, s62, s55
	s_add_co_ci_u32 s2, s63, s0
	s_mul_i32 s60, s59, s61
	s_add_co_ci_u32 s61, s64, 0
	s_delay_alu instid0(SALU_CYCLE_1) | instskip(NEXT) | instid1(SALU_CYCLE_1)
	s_add_nc_u64 s[60:61], s[2:3], s[60:61]
	s_add_co_u32 s0, s58, s60
	s_cselect_b32 s2, -1, 0
	v_mul_hi_u32 v28, v20, s0
	s_cmp_lg_u32 s2, 0
	s_add_co_ci_u32 s2, s59, s61
	s_and_b64 s[58:59], s[0:1], s[34:35]
	v_mul_u64_e32 v[22:23], s[2:3], v[20:21]
	v_mul_u64_e32 v[14:15], s[58:59], v[24:25]
	;; [unrolled: 1-line block ×3, first 2 shown]
	s_delay_alu instid0(VALU_DEP_3) | instskip(NEXT) | instid1(VALU_DEP_1)
	v_add_nc_u64_e32 v[22:23], v[28:29], v[22:23]
	v_add_co_u32 v3, vcc_lo, v22, v14
	s_delay_alu instid0(VALU_DEP_2) | instskip(NEXT) | instid1(VALU_DEP_4)
	v_add_co_ci_u32_e32 v28, vcc_lo, v23, v15, vcc_lo
	v_add_co_ci_u32_e32 v27, vcc_lo, 0, v27, vcc_lo
	s_delay_alu instid0(VALU_DEP_1) | instskip(NEXT) | instid1(VALU_DEP_1)
	v_add_nc_u64_e32 v[14:15], v[28:29], v[26:27]
	v_mul_u64_e32 v[22:23], s[56:57], v[14:15]
	s_delay_alu instid0(VALU_DEP_1) | instskip(NEXT) | instid1(VALU_DEP_2)
	v_sub_nc_u32_e32 v3, v24, v23
	v_sub_co_u32 v17, vcc_lo, v20, v22
	s_delay_alu instid0(VALU_DEP_1) | instskip(NEXT) | instid1(VALU_DEP_3)
	v_sub_co_ci_u32_e64 v24, null, v24, v23, vcc_lo
	v_subrev_co_ci_u32_e64 v3, null, s57, v3, vcc_lo
	s_delay_alu instid0(VALU_DEP_3) | instskip(SKIP_1) | instid1(VALU_DEP_3)
	v_sub_co_u32 v20, s0, v17, s56
	v_add_nc_u64_e32 v[22:23], 1, v[14:15]
	v_subrev_co_ci_u32_e64 v3, null, 0, v3, s0
	s_delay_alu instid0(VALU_DEP_3) | instskip(SKIP_1) | instid1(VALU_DEP_3)
	v_cmp_le_u32_e32 vcc_lo, s56, v20
	v_cndmask_b32_e64 v20, 0, -1, vcc_lo
	v_cmp_le_u32_e32 vcc_lo, s57, v3
	v_cndmask_b32_e64 v21, 0, -1, vcc_lo
	v_cmp_le_u32_e32 vcc_lo, s56, v17
	v_cndmask_b32_e64 v17, 0, -1, vcc_lo
	v_cmp_le_u32_e32 vcc_lo, s57, v24
	v_cndmask_b32_e64 v25, 0, -1, vcc_lo
	v_cmp_eq_u32_e32 vcc_lo, s57, v3
	v_cndmask_b32_e32 v3, v21, v20, vcc_lo
	v_cmp_eq_u32_e32 vcc_lo, s57, v24
	v_add_nc_u64_e32 v[20:21], 2, v[14:15]
	v_cndmask_b32_e32 v17, v25, v17, vcc_lo
	s_delay_alu instid0(VALU_DEP_4) | instskip(NEXT) | instid1(VALU_DEP_2)
	v_cmp_ne_u32_e32 vcc_lo, 0, v3
	v_cmp_ne_u32_e64 s0, 0, v17
	s_delay_alu instid0(VALU_DEP_4) | instskip(NEXT) | instid1(VALU_DEP_1)
	v_dual_cndmask_b32 v3, v23, v21, vcc_lo :: v_dual_cndmask_b32 v17, v22, v20, vcc_lo
	v_dual_cndmask_b32 v14, v14, v17, s0 :: v_dual_mov_b32 v17, v16
	s_delay_alu instid0(VALU_DEP_1) | instskip(NEXT) | instid1(VALU_DEP_1)
	v_dual_cndmask_b32 v3, v15, v3, s0 :: v_dual_bitop2_b32 v14, v14, v16 bitop3:0x14
	v_xor_b32_e32 v15, v3, v16
	s_delay_alu instid0(VALU_DEP_1)
	v_sub_nc_u64_e32 v[16:17], v[14:15], v[16:17]
                                        ; implicit-def: $vgpr14_vgpr15
.LBB15_29:                              ;   in Loop: Header=BB15_4 Depth=1
	s_and_not1_saveexec_b32 s0, s43
	s_cbranch_execz .LBB15_31
; %bb.30:                               ;   in Loop: Header=BB15_4 Depth=1
	v_cvt_f32_u32_e32 v3, s20
	s_sub_co_i32 s2, 0, s20
	v_mov_b32_e32 v17, v2
	s_delay_alu instid0(VALU_DEP_2) | instskip(SKIP_1) | instid1(TRANS32_DEP_1)
	v_rcp_iflag_f32_e32 v3, v3
	v_nop
	v_mul_f32_e32 v3, 0x4f7ffffe, v3
	s_delay_alu instid0(VALU_DEP_1) | instskip(NEXT) | instid1(VALU_DEP_1)
	v_cvt_u32_f32_e32 v3, v3
	v_mul_lo_u32 v15, s2, v3
	s_delay_alu instid0(VALU_DEP_1) | instskip(NEXT) | instid1(VALU_DEP_1)
	v_mul_hi_u32 v15, v3, v15
	v_add_nc_u32_e32 v3, v3, v15
	s_delay_alu instid0(VALU_DEP_1) | instskip(NEXT) | instid1(VALU_DEP_1)
	v_mul_hi_u32 v3, v14, v3
	v_mul_lo_u32 v15, v3, s20
	s_delay_alu instid0(VALU_DEP_1) | instskip(SKIP_1) | instid1(VALU_DEP_2)
	v_sub_nc_u32_e32 v14, v14, v15
	v_add_nc_u32_e32 v15, 1, v3
	v_subrev_nc_u32_e32 v16, s20, v14
	v_cmp_le_u32_e32 vcc_lo, s20, v14
	s_delay_alu instid0(VALU_DEP_2) | instskip(NEXT) | instid1(VALU_DEP_1)
	v_dual_cndmask_b32 v14, v14, v16 :: v_dual_cndmask_b32 v3, v3, v15
	v_cmp_le_u32_e32 vcc_lo, s20, v14
	s_delay_alu instid0(VALU_DEP_2) | instskip(NEXT) | instid1(VALU_DEP_1)
	v_add_nc_u32_e32 v15, 1, v3
	v_cndmask_b32_e32 v16, v3, v15, vcc_lo
.LBB15_31:                              ;   in Loop: Header=BB15_4 Depth=1
	s_or_b32 exec_lo, exec_lo, s0
	s_delay_alu instid0(VALU_DEP_1)
	v_add_nc_u64_e32 v[14:15], 1, v[16:17]
.LBB15_32:                              ;   in Loop: Header=BB15_4 Depth=1
	s_or_b32 exec_lo, exec_lo, s1
	v_or_b32_e32 v3, s21, v9
                                        ; implicit-def: $vgpr16_vgpr17
	s_mov_b32 s0, exec_lo
	s_delay_alu instid0(VALU_DEP_1)
	v_cmpx_ne_u64_e32 0, v[2:3]
	s_xor_b32 s1, exec_lo, s0
	s_cbranch_execz .LBB15_34
; %bb.33:                               ;   in Loop: Header=BB15_4 Depth=1
	s_ashr_i32 s54, s21, 31
	v_dual_mov_b32 v23, v2 :: v_dual_ashrrev_i32 v16, 31, v9
	s_mov_b32 s55, s54
	v_mov_b32_e32 v27, v2
	s_add_nc_u64 s[56:57], s[20:21], s[54:55]
	s_delay_alu instid0(VALU_DEP_2)
	v_mov_b32_e32 v17, v16
	s_xor_b64 s[56:57], s[56:57], s[54:55]
	v_mov_b32_e32 v31, v2
	s_cvt_f32_u32 s0, s56
	s_cvt_f32_u32 s2, s57
	s_sub_nc_u64 s[60:61], 0, s[56:57]
	v_add_nc_u64_e32 v[20:21], v[8:9], v[16:17]
	s_delay_alu instid0(SALU_CYCLE_1) | instskip(NEXT) | instid1(SALU_CYCLE_3)
	s_fmamk_f32 s0, s2, 0x4f800000, s0
	v_s_rcp_f32 s0, s0
	s_delay_alu instid0(VALU_DEP_1) | instskip(NEXT) | instid1(VALU_DEP_2)
	v_xor_b32_e32 v22, v20, v16
	v_xor_b32_e32 v26, v21, v16
	s_delay_alu instid0(TRANS32_DEP_1) | instskip(NEXT) | instid1(SALU_CYCLE_3)
	s_mul_f32 s0, s0, 0x5f7ffffc
	s_mul_f32 s2, s0, 0x2f800000
	s_delay_alu instid0(SALU_CYCLE_3) | instskip(NEXT) | instid1(SALU_CYCLE_3)
	s_trunc_f32 s2, s2
	s_fmamk_f32 s0, s2, 0xcf800000, s0
	s_cvt_u32_f32 s59, s2
	s_delay_alu instid0(SALU_CYCLE_2) | instskip(NEXT) | instid1(SALU_CYCLE_3)
	s_cvt_u32_f32 s58, s0
	s_mul_u64 s[62:63], s[60:61], s[58:59]
	s_delay_alu instid0(SALU_CYCLE_1)
	s_mul_hi_u32 s65, s58, s63
	s_mul_i32 s64, s58, s63
	s_mul_hi_u32 s2, s58, s62
	s_mul_i32 s43, s59, s62
	s_add_nc_u64 s[64:65], s[2:3], s[64:65]
	s_mul_hi_u32 s0, s59, s62
	s_mul_hi_u32 s55, s59, s63
	s_add_co_u32 s2, s64, s43
	s_add_co_ci_u32 s2, s65, s0
	s_mul_i32 s62, s59, s63
	s_add_co_ci_u32 s63, s55, 0
	s_delay_alu instid0(SALU_CYCLE_1) | instskip(NEXT) | instid1(SALU_CYCLE_1)
	s_add_nc_u64 s[62:63], s[2:3], s[62:63]
	s_add_co_u32 s58, s58, s62
	s_cselect_b32 s0, -1, 0
	s_delay_alu instid0(SALU_CYCLE_1) | instskip(SKIP_1) | instid1(SALU_CYCLE_1)
	s_cmp_lg_u32 s0, 0
	s_add_co_ci_u32 s59, s59, s63
	s_mul_u64 s[60:61], s[60:61], s[58:59]
	s_delay_alu instid0(SALU_CYCLE_1)
	s_mul_hi_u32 s63, s58, s61
	s_mul_i32 s62, s58, s61
	s_mul_hi_u32 s2, s58, s60
	s_mul_i32 s43, s59, s60
	s_add_nc_u64 s[62:63], s[2:3], s[62:63]
	s_mul_hi_u32 s0, s59, s60
	s_mul_hi_u32 s55, s59, s61
	s_add_co_u32 s2, s62, s43
	s_add_co_ci_u32 s2, s63, s0
	s_mul_i32 s60, s59, s61
	s_add_co_ci_u32 s61, s55, 0
	s_delay_alu instid0(SALU_CYCLE_1) | instskip(NEXT) | instid1(SALU_CYCLE_1)
	s_add_nc_u64 s[60:61], s[2:3], s[60:61]
	s_add_co_u32 s0, s58, s60
	s_cselect_b32 s2, -1, 0
	v_mul_hi_u32 v30, v22, s0
	s_cmp_lg_u32 s2, 0
	s_add_co_ci_u32 s2, s59, s61
	s_and_b64 s[58:59], s[0:1], s[34:35]
	v_mul_u64_e32 v[24:25], s[2:3], v[22:23]
	v_mul_u64_e32 v[20:21], s[58:59], v[26:27]
	;; [unrolled: 1-line block ×3, first 2 shown]
	s_delay_alu instid0(VALU_DEP_3) | instskip(NEXT) | instid1(VALU_DEP_1)
	v_add_nc_u64_e32 v[24:25], v[30:31], v[24:25]
	v_add_co_u32 v3, vcc_lo, v24, v20
	s_delay_alu instid0(VALU_DEP_2) | instskip(NEXT) | instid1(VALU_DEP_4)
	v_add_co_ci_u32_e32 v30, vcc_lo, v25, v21, vcc_lo
	v_add_co_ci_u32_e32 v29, vcc_lo, 0, v29, vcc_lo
	s_delay_alu instid0(VALU_DEP_1) | instskip(NEXT) | instid1(VALU_DEP_1)
	v_add_nc_u64_e32 v[20:21], v[30:31], v[28:29]
	v_mul_u64_e32 v[24:25], s[56:57], v[20:21]
	s_delay_alu instid0(VALU_DEP_1) | instskip(NEXT) | instid1(VALU_DEP_2)
	v_sub_nc_u32_e32 v3, v26, v25
	v_sub_co_u32 v17, vcc_lo, v22, v24
	s_delay_alu instid0(VALU_DEP_1) | instskip(NEXT) | instid1(VALU_DEP_3)
	v_sub_co_ci_u32_e64 v26, null, v26, v25, vcc_lo
	v_subrev_co_ci_u32_e64 v3, null, s57, v3, vcc_lo
	s_delay_alu instid0(VALU_DEP_3) | instskip(SKIP_1) | instid1(VALU_DEP_3)
	v_sub_co_u32 v22, s0, v17, s56
	v_add_nc_u64_e32 v[24:25], 1, v[20:21]
	v_subrev_co_ci_u32_e64 v3, null, 0, v3, s0
	s_delay_alu instid0(VALU_DEP_3) | instskip(SKIP_1) | instid1(VALU_DEP_3)
	v_cmp_le_u32_e32 vcc_lo, s56, v22
	v_cndmask_b32_e64 v22, 0, -1, vcc_lo
	v_cmp_le_u32_e32 vcc_lo, s57, v3
	v_cndmask_b32_e64 v23, 0, -1, vcc_lo
	;; [unrolled: 2-line block ×4, first 2 shown]
	v_cmp_eq_u32_e32 vcc_lo, s57, v3
	v_cndmask_b32_e32 v3, v23, v22, vcc_lo
	v_cmp_eq_u32_e32 vcc_lo, s57, v26
	v_add_nc_u64_e32 v[22:23], 2, v[20:21]
	v_cndmask_b32_e32 v17, v27, v17, vcc_lo
	s_delay_alu instid0(VALU_DEP_4) | instskip(NEXT) | instid1(VALU_DEP_3)
	v_cmp_ne_u32_e32 vcc_lo, 0, v3
	v_cndmask_b32_e32 v3, v25, v23, vcc_lo
	s_delay_alu instid0(VALU_DEP_3) | instskip(SKIP_1) | instid1(VALU_DEP_1)
	v_cmp_ne_u32_e64 s0, 0, v17
	v_dual_cndmask_b32 v17, v24, v22, vcc_lo :: v_dual_bitop2_b32 v16, s54, v16 bitop3:0x14
	v_dual_cndmask_b32 v3, v21, v3, s0 :: v_dual_cndmask_b32 v20, v20, v17, s0
	s_delay_alu instid0(VALU_DEP_1) | instskip(NEXT) | instid1(VALU_DEP_2)
	v_dual_mov_b32 v17, v16 :: v_dual_bitop2_b32 v21, v3, v16 bitop3:0x14
	v_xor_b32_e32 v20, v20, v16
	s_delay_alu instid0(VALU_DEP_1)
	v_sub_nc_u64_e32 v[16:17], v[20:21], v[16:17]
.LBB15_34:                              ;   in Loop: Header=BB15_4 Depth=1
	s_and_not1_saveexec_b32 s0, s1
	s_cbranch_execz .LBB15_36
; %bb.35:                               ;   in Loop: Header=BB15_4 Depth=1
	v_cvt_f32_u32_e32 v3, s20
	s_sub_co_i32 s1, 0, s20
	s_delay_alu instid0(VALU_DEP_1) | instskip(SKIP_1) | instid1(TRANS32_DEP_1)
	v_rcp_iflag_f32_e32 v3, v3
	v_nop
	v_mul_f32_e32 v3, 0x4f7ffffe, v3
	s_delay_alu instid0(VALU_DEP_1) | instskip(NEXT) | instid1(VALU_DEP_1)
	v_cvt_u32_f32_e32 v3, v3
	v_mul_lo_u32 v16, s1, v3
	s_delay_alu instid0(VALU_DEP_1) | instskip(NEXT) | instid1(VALU_DEP_1)
	v_mul_hi_u32 v16, v3, v16
	v_add_nc_u32_e32 v3, v3, v16
	s_delay_alu instid0(VALU_DEP_1) | instskip(NEXT) | instid1(VALU_DEP_1)
	v_mul_hi_u32 v3, v8, v3
	v_mul_lo_u32 v16, v3, s20
	s_delay_alu instid0(VALU_DEP_1) | instskip(NEXT) | instid1(VALU_DEP_1)
	v_sub_nc_u32_e32 v16, v8, v16
	v_subrev_nc_u32_e32 v20, s20, v16
	v_cmp_le_u32_e32 vcc_lo, s20, v16
	s_delay_alu instid0(VALU_DEP_2) | instskip(NEXT) | instid1(VALU_DEP_1)
	v_dual_cndmask_b32 v16, v16, v20 :: v_dual_add_nc_u32 v17, 1, v3
	v_cndmask_b32_e32 v3, v3, v17, vcc_lo
	s_delay_alu instid0(VALU_DEP_2) | instskip(NEXT) | instid1(VALU_DEP_2)
	v_cmp_le_u32_e32 vcc_lo, s20, v16
	v_add_nc_u32_e32 v17, 1, v3
	s_delay_alu instid0(VALU_DEP_1)
	v_dual_cndmask_b32 v16, v3, v17 :: v_dual_mov_b32 v17, v2
.LBB15_36:                              ;   in Loop: Header=BB15_4 Depth=1
	s_or_b32 exec_lo, exec_lo, s0
	s_delay_alu instid0(VALU_DEP_1) | instskip(SKIP_2) | instid1(VALU_DEP_2)
	v_add_nc_u64_e32 v[16:17], 1, v[16:17]
	v_mov_b32_e32 v33, 0
	s_mov_b32 s43, exec_lo
	v_min_i64 v[16:17], v[16:17], s[36:37]
	s_delay_alu instid0(VALU_DEP_1)
	v_cmpx_lt_i64_e64 v[14:15], v[16:17]
	s_cbranch_execz .LBB15_3
; %bb.37:                               ;   in Loop: Header=BB15_4 Depth=1
	v_add_nc_u64_e32 v[18:19], 1, v[18:19]
	v_mul_u64_e32 v[20:21], s[22:23], v[6:7]
	v_mul_u64_e32 v[10:11], s[12:13], v[10:11]
	v_add_nc_u64_e32 v[22:23], s[18:19], v[4:5]
	v_mov_b32_e32 v33, 0
	s_mov_b32 s58, 0
	v_min_i64 v[18:19], v[18:19], s[38:39]
	s_delay_alu instid0(VALU_DEP_3) | instskip(NEXT) | instid1(VALU_DEP_2)
	v_sub_nc_u64_e32 v[20:21], v[22:23], v[20:21]
	v_cmp_lt_i64_e64 s0, v[6:7], v[18:19]
	s_delay_alu instid0(VALU_DEP_2)
	v_sub_nc_u64_e32 v[12:13], v[20:21], v[12:13]
	v_lshl_add_u64 v[20:21], v[6:7], 1, s[6:7]
	s_branch .LBB15_40
.LBB15_38:                              ;   in Loop: Header=BB15_40 Depth=2
	s_or_b32 exec_lo, exec_lo, s60
.LBB15_39:                              ;   in Loop: Header=BB15_40 Depth=2
	s_delay_alu instid0(SALU_CYCLE_1) | instskip(SKIP_1) | instid1(VALU_DEP_1)
	s_or_b32 exec_lo, exec_lo, s59
	v_add_nc_u64_e32 v[14:15], 1, v[14:15]
	v_cmp_ge_i64_e32 vcc_lo, v[14:15], v[16:17]
	s_or_b32 s58, vcc_lo, s58
	s_delay_alu instid0(SALU_CYCLE_1)
	s_and_not1_b32 exec_lo, exec_lo, s58
	s_cbranch_execz .LBB15_2
.LBB15_40:                              ;   Parent Loop BB15_4 Depth=1
                                        ; =>  This Loop Header: Depth=2
                                        ;       Child Loop BB15_48 Depth 3
	s_delay_alu instid0(VALU_DEP_3)
	s_and_saveexec_b32 s59, s0
	s_cbranch_execz .LBB15_39
; %bb.41:                               ;   in Loop: Header=BB15_40 Depth=2
	v_mul_u64_e32 v[22:23], s[20:21], v[14:15]
	s_mov_b32 s1, exec_lo
	s_delay_alu instid0(VALU_DEP_1) | instskip(NEXT) | instid1(VALU_DEP_1)
	v_sub_nc_u64_e32 v[24:25], v[8:9], v[22:23]
                                        ; implicit-def: $vgpr22_vgpr23
	v_or_b32_e32 v3, s25, v25
	s_delay_alu instid0(VALU_DEP_1)
	v_cmpx_ne_u64_e32 0, v[2:3]
	s_xor_b32 s60, exec_lo, s1
	s_cbranch_execz .LBB15_43
; %bb.42:                               ;   in Loop: Header=BB15_40 Depth=2
	s_ashr_i32 s54, s25, 31
	v_dual_mov_b32 v29, v2 :: v_dual_ashrrev_i32 v22, 31, v25
	s_mov_b32 s55, s54
	v_mov_b32_e32 v35, v2
	s_add_nc_u64 s[56:57], s[24:25], s[54:55]
	s_delay_alu instid0(VALU_DEP_2)
	v_mov_b32_e32 v23, v22
	s_xor_b64 s[56:57], s[56:57], s[54:55]
	v_mov_b32_e32 v39, v2
	s_cvt_f32_u32 s1, s56
	s_cvt_f32_u32 s2, s57
	s_sub_nc_u64 s[64:65], 0, s[56:57]
	v_add_nc_u64_e32 v[26:27], v[24:25], v[22:23]
	s_delay_alu instid0(SALU_CYCLE_1) | instskip(NEXT) | instid1(SALU_CYCLE_3)
	s_fmamk_f32 s1, s2, 0x4f800000, s1
	v_s_rcp_f32 s1, s1
	s_delay_alu instid0(VALU_DEP_1) | instskip(NEXT) | instid1(VALU_DEP_2)
	v_xor_b32_e32 v28, v26, v22
	v_xor_b32_e32 v34, v27, v22
	;; [unrolled: 1-line block ×3, first 2 shown]
	s_delay_alu instid0(TRANS32_DEP_1) | instskip(NEXT) | instid1(SALU_CYCLE_3)
	s_mul_f32 s1, s1, 0x5f7ffffc
	s_mul_f32 s2, s1, 0x2f800000
	s_delay_alu instid0(SALU_CYCLE_3) | instskip(NEXT) | instid1(SALU_CYCLE_3)
	s_trunc_f32 s2, s2
	s_fmamk_f32 s1, s2, 0xcf800000, s1
	s_cvt_u32_f32 s63, s2
	s_delay_alu instid0(SALU_CYCLE_2) | instskip(NEXT) | instid1(SALU_CYCLE_3)
	s_cvt_u32_f32 s62, s1
	s_mul_u64 s[66:67], s[64:65], s[62:63]
	s_delay_alu instid0(SALU_CYCLE_1)
	s_mul_hi_u32 s69, s62, s67
	s_mul_i32 s68, s62, s67
	s_mul_hi_u32 s2, s62, s66
	s_mul_i32 s55, s63, s66
	s_add_nc_u64 s[68:69], s[2:3], s[68:69]
	s_mul_hi_u32 s1, s63, s66
	s_mul_hi_u32 s61, s63, s67
	s_add_co_u32 s2, s68, s55
	s_add_co_ci_u32 s2, s69, s1
	s_mul_i32 s66, s63, s67
	s_add_co_ci_u32 s67, s61, 0
	s_delay_alu instid0(SALU_CYCLE_1) | instskip(NEXT) | instid1(SALU_CYCLE_1)
	s_add_nc_u64 s[66:67], s[2:3], s[66:67]
	s_add_co_u32 s62, s62, s66
	s_cselect_b32 s1, -1, 0
	s_delay_alu instid0(SALU_CYCLE_1) | instskip(SKIP_1) | instid1(SALU_CYCLE_1)
	s_cmp_lg_u32 s1, 0
	s_add_co_ci_u32 s63, s63, s67
	s_mul_u64 s[64:65], s[64:65], s[62:63]
	s_delay_alu instid0(SALU_CYCLE_1)
	s_mul_hi_u32 s67, s62, s65
	s_mul_i32 s66, s62, s65
	s_mul_hi_u32 s2, s62, s64
	s_mul_i32 s55, s63, s64
	s_add_nc_u64 s[66:67], s[2:3], s[66:67]
	s_mul_hi_u32 s1, s63, s64
	s_mul_hi_u32 s61, s63, s65
	s_add_co_u32 s2, s66, s55
	s_add_co_ci_u32 s2, s67, s1
	s_mul_i32 s64, s63, s65
	s_add_co_ci_u32 s65, s61, 0
	s_delay_alu instid0(SALU_CYCLE_1) | instskip(NEXT) | instid1(SALU_CYCLE_1)
	s_add_nc_u64 s[64:65], s[2:3], s[64:65]
	s_add_co_u32 s62, s62, s64
	s_cselect_b32 s1, -1, 0
	v_mul_hi_u32 v38, v28, s62
	s_cmp_lg_u32 s1, 0
	s_add_co_ci_u32 s2, s63, s65
	s_and_b64 s[64:65], s[62:63], s[34:35]
	v_mul_u64_e32 v[30:31], s[2:3], v[28:29]
	v_mul_u64_e32 v[26:27], s[64:65], v[34:35]
	;; [unrolled: 1-line block ×3, first 2 shown]
	s_delay_alu instid0(VALU_DEP_3) | instskip(NEXT) | instid1(VALU_DEP_1)
	v_add_nc_u64_e32 v[30:31], v[38:39], v[30:31]
	v_add_co_u32 v3, vcc_lo, v30, v26
	s_delay_alu instid0(VALU_DEP_2) | instskip(NEXT) | instid1(VALU_DEP_4)
	v_add_co_ci_u32_e32 v38, vcc_lo, v31, v27, vcc_lo
	v_add_co_ci_u32_e32 v37, vcc_lo, 0, v37, vcc_lo
	s_delay_alu instid0(VALU_DEP_1) | instskip(NEXT) | instid1(VALU_DEP_1)
	v_add_nc_u64_e32 v[26:27], v[38:39], v[36:37]
	v_mul_u64_e32 v[30:31], s[56:57], v[26:27]
	s_delay_alu instid0(VALU_DEP_1) | instskip(NEXT) | instid1(VALU_DEP_2)
	v_sub_nc_u32_e32 v3, v34, v31
	v_sub_co_u32 v23, vcc_lo, v28, v30
	s_delay_alu instid0(VALU_DEP_1) | instskip(NEXT) | instid1(VALU_DEP_3)
	v_sub_co_ci_u32_e64 v34, null, v34, v31, vcc_lo
	v_subrev_co_ci_u32_e64 v3, null, s57, v3, vcc_lo
	s_delay_alu instid0(VALU_DEP_3) | instskip(SKIP_1) | instid1(VALU_DEP_3)
	v_sub_co_u32 v28, s1, v23, s56
	v_add_nc_u64_e32 v[30:31], 1, v[26:27]
	v_subrev_co_ci_u32_e64 v3, null, 0, v3, s1
	s_delay_alu instid0(VALU_DEP_3) | instskip(SKIP_1) | instid1(VALU_DEP_3)
	v_cmp_le_u32_e32 vcc_lo, s56, v28
	v_cndmask_b32_e64 v28, 0, -1, vcc_lo
	v_cmp_le_u32_e32 vcc_lo, s57, v3
	v_cndmask_b32_e64 v29, 0, -1, vcc_lo
	;; [unrolled: 2-line block ×4, first 2 shown]
	v_cmp_eq_u32_e32 vcc_lo, s57, v3
	v_cndmask_b32_e32 v3, v29, v28, vcc_lo
	v_cmp_eq_u32_e32 vcc_lo, s57, v34
	v_add_nc_u64_e32 v[28:29], 2, v[26:27]
	v_cndmask_b32_e32 v23, v35, v23, vcc_lo
	s_delay_alu instid0(VALU_DEP_4) | instskip(NEXT) | instid1(VALU_DEP_2)
	v_cmp_ne_u32_e32 vcc_lo, 0, v3
	v_cmp_ne_u32_e64 s1, 0, v23
	s_delay_alu instid0(VALU_DEP_4) | instskip(NEXT) | instid1(VALU_DEP_1)
	v_dual_cndmask_b32 v23, v30, v28, vcc_lo :: v_dual_cndmask_b32 v3, v31, v29, vcc_lo
	v_cndmask_b32_e64 v26, v26, v23, s1
	s_delay_alu instid0(VALU_DEP_2) | instskip(NEXT) | instid1(VALU_DEP_2)
	v_dual_cndmask_b32 v3, v27, v3, s1 :: v_dual_mov_b32 v23, v22
	v_xor_b32_e32 v26, v26, v22
	s_delay_alu instid0(VALU_DEP_2) | instskip(NEXT) | instid1(VALU_DEP_1)
	v_xor_b32_e32 v27, v3, v22
	v_sub_nc_u64_e32 v[22:23], v[26:27], v[22:23]
.LBB15_43:                              ;   in Loop: Header=BB15_40 Depth=2
	s_and_not1_saveexec_b32 s1, s60
	s_cbranch_execz .LBB15_45
; %bb.44:                               ;   in Loop: Header=BB15_40 Depth=2
	v_cvt_f32_u32_e32 v3, s24
	s_sub_co_i32 s2, 0, s24
	s_delay_alu instid0(VALU_DEP_1) | instskip(SKIP_1) | instid1(TRANS32_DEP_1)
	v_rcp_iflag_f32_e32 v3, v3
	v_nop
	v_mul_f32_e32 v3, 0x4f7ffffe, v3
	s_delay_alu instid0(VALU_DEP_1) | instskip(NEXT) | instid1(VALU_DEP_1)
	v_cvt_u32_f32_e32 v3, v3
	v_mul_lo_u32 v22, s2, v3
	s_delay_alu instid0(VALU_DEP_1) | instskip(NEXT) | instid1(VALU_DEP_1)
	v_mul_hi_u32 v22, v3, v22
	v_add_nc_u32_e32 v3, v3, v22
	s_delay_alu instid0(VALU_DEP_1) | instskip(NEXT) | instid1(VALU_DEP_1)
	v_mul_hi_u32 v3, v24, v3
	v_mul_lo_u32 v22, v3, s24
	s_delay_alu instid0(VALU_DEP_1) | instskip(NEXT) | instid1(VALU_DEP_1)
	v_sub_nc_u32_e32 v22, v24, v22
	v_subrev_nc_u32_e32 v26, s24, v22
	v_cmp_le_u32_e32 vcc_lo, s24, v22
	s_delay_alu instid0(VALU_DEP_2) | instskip(NEXT) | instid1(VALU_DEP_1)
	v_dual_cndmask_b32 v22, v22, v26 :: v_dual_add_nc_u32 v23, 1, v3
	v_cndmask_b32_e32 v3, v3, v23, vcc_lo
	s_delay_alu instid0(VALU_DEP_2) | instskip(NEXT) | instid1(VALU_DEP_2)
	v_cmp_le_u32_e32 vcc_lo, s24, v22
	v_add_nc_u32_e32 v23, 1, v3
	s_delay_alu instid0(VALU_DEP_1)
	v_dual_cndmask_b32 v22, v3, v23 :: v_dual_mov_b32 v23, v2
.LBB15_45:                              ;   in Loop: Header=BB15_40 Depth=2
	s_or_b32 exec_lo, exec_lo, s1
	s_delay_alu instid0(VALU_DEP_1) | instskip(SKIP_3) | instid1(VALU_DEP_2)
	v_mul_u64_e32 v[26:27], s[24:25], v[22:23]
	v_add_nc_u64_e32 v[22:23], v[22:23], v[10:11]
	v_mov_b64_e32 v[28:29], v[6:7]
	s_mov_b32 s60, 0
	v_mul_u64_e32 v[22:23], s[14:15], v[22:23]
	s_delay_alu instid0(VALU_DEP_4) | instskip(SKIP_1) | instid1(VALU_DEP_2)
	v_sub_nc_u64_e32 v[24:25], v[24:25], v[26:27]
	v_mov_b64_e32 v[26:27], v[20:21]
	v_cmp_eq_u64_e64 s1, 0, v[24:25]
	v_mov_b64_e32 v[24:25], v[12:13]
	s_branch .LBB15_48
.LBB15_46:                              ;   in Loop: Header=BB15_48 Depth=3
	s_wait_xcnt 0x0
	s_or_b32 exec_lo, exec_lo, s2
.LBB15_47:                              ;   in Loop: Header=BB15_48 Depth=3
	s_delay_alu instid0(SALU_CYCLE_1) | instskip(SKIP_3) | instid1(VALU_DEP_3)
	s_or_b32 exec_lo, exec_lo, s61
	v_add_nc_u64_e32 v[28:29], 1, v[28:29]
	v_add_nc_u64_e32 v[26:27], 2, v[26:27]
	v_sub_nc_u64_e64 v[24:25], v[24:25], s[22:23]
	v_cmp_ge_i64_e32 vcc_lo, v[28:29], v[18:19]
	s_or_b32 s60, vcc_lo, s60
	s_delay_alu instid0(SALU_CYCLE_1)
	s_and_not1_b32 exec_lo, exec_lo, s60
	s_cbranch_execz .LBB15_38
.LBB15_48:                              ;   Parent Loop BB15_4 Depth=1
                                        ;     Parent Loop BB15_40 Depth=2
                                        ; =>    This Inner Loop Header: Depth=3
	s_delay_alu instid0(VALU_DEP_2)
	s_and_saveexec_b32 s61, s1
	s_cbranch_execz .LBB15_47
; %bb.49:                               ;   in Loop: Header=BB15_48 Depth=3
	s_delay_alu instid0(VALU_DEP_1) | instskip(SKIP_1) | instid1(VALU_DEP_1)
	v_or_b32_e32 v3, s27, v25
                                        ; implicit-def: $vgpr30_vgpr31
	s_mov_b32 s2, exec_lo
	v_cmpx_ne_u64_e32 0, v[2:3]
	s_xor_b32 s62, exec_lo, s2
	s_cbranch_execz .LBB15_51
; %bb.50:                               ;   in Loop: Header=BB15_48 Depth=3
	s_ashr_i32 s54, s27, 31
	v_dual_mov_b32 v37, v2 :: v_dual_ashrrev_i32 v30, 31, v25
	s_mov_b32 s55, s54
	v_mov_b32_e32 v41, v2
	s_add_nc_u64 s[56:57], s[26:27], s[54:55]
	s_delay_alu instid0(VALU_DEP_2)
	v_mov_b32_e32 v31, v30
	s_xor_b64 s[56:57], s[56:57], s[54:55]
	v_mov_b32_e32 v45, v2
	s_cvt_f32_u32 s2, s56
	s_cvt_f32_u32 s55, s57
	s_sub_nc_u64 s[66:67], 0, s[56:57]
	v_add_nc_u64_e32 v[34:35], v[24:25], v[30:31]
	s_delay_alu instid0(SALU_CYCLE_1) | instskip(NEXT) | instid1(SALU_CYCLE_3)
	s_fmamk_f32 s2, s55, 0x4f800000, s2
	v_s_rcp_f32 s2, s2
	s_delay_alu instid0(VALU_DEP_1) | instskip(NEXT) | instid1(VALU_DEP_2)
	v_xor_b32_e32 v40, v35, v30
	v_xor_b32_e32 v36, v34, v30
	s_delay_alu instid0(TRANS32_DEP_1) | instskip(NEXT) | instid1(SALU_CYCLE_3)
	s_mul_f32 s2, s2, 0x5f7ffffc
	s_mul_f32 s55, s2, 0x2f800000
	s_delay_alu instid0(SALU_CYCLE_3) | instskip(NEXT) | instid1(SALU_CYCLE_3)
	s_trunc_f32 s55, s55
	s_fmamk_f32 s2, s55, 0xcf800000, s2
	s_cvt_u32_f32 s65, s55
	s_delay_alu instid0(SALU_CYCLE_2) | instskip(NEXT) | instid1(SALU_CYCLE_3)
	s_cvt_u32_f32 s64, s2
	s_mul_u64 s[68:69], s[66:67], s[64:65]
	s_delay_alu instid0(SALU_CYCLE_1)
	s_mul_hi_u32 s71, s64, s69
	s_mul_i32 s70, s64, s69
	s_mul_hi_u32 s2, s64, s68
	s_mul_i32 s63, s65, s68
	s_add_nc_u64 s[70:71], s[2:3], s[70:71]
	s_mul_hi_u32 s55, s65, s68
	s_mul_hi_u32 s72, s65, s69
	s_add_co_u32 s2, s70, s63
	s_add_co_ci_u32 s2, s71, s55
	s_mul_i32 s68, s65, s69
	s_add_co_ci_u32 s69, s72, 0
	s_delay_alu instid0(SALU_CYCLE_1) | instskip(NEXT) | instid1(SALU_CYCLE_1)
	s_add_nc_u64 s[68:69], s[2:3], s[68:69]
	s_add_co_u32 s64, s64, s68
	s_cselect_b32 s2, -1, 0
	s_delay_alu instid0(SALU_CYCLE_1) | instskip(SKIP_1) | instid1(SALU_CYCLE_1)
	s_cmp_lg_u32 s2, 0
	s_add_co_ci_u32 s65, s65, s69
	s_mul_u64 s[66:67], s[66:67], s[64:65]
	s_delay_alu instid0(SALU_CYCLE_1)
	s_mul_hi_u32 s69, s64, s67
	s_mul_i32 s68, s64, s67
	s_mul_hi_u32 s2, s64, s66
	s_mul_i32 s63, s65, s66
	s_add_nc_u64 s[68:69], s[2:3], s[68:69]
	s_mul_hi_u32 s55, s65, s66
	s_mul_hi_u32 s70, s65, s67
	s_add_co_u32 s2, s68, s63
	s_add_co_ci_u32 s2, s69, s55
	s_mul_i32 s66, s65, s67
	s_add_co_ci_u32 s67, s70, 0
	s_delay_alu instid0(SALU_CYCLE_1) | instskip(NEXT) | instid1(SALU_CYCLE_1)
	s_add_nc_u64 s[66:67], s[2:3], s[66:67]
	s_add_co_u32 s64, s64, s66
	s_cselect_b32 s2, -1, 0
	v_mul_hi_u32 v44, v36, s64
	s_cmp_lg_u32 s2, 0
	s_add_co_ci_u32 s2, s65, s67
	s_and_b64 s[66:67], s[64:65], s[34:35]
	v_mul_u64_e32 v[38:39], s[2:3], v[36:37]
	v_mul_u64_e32 v[34:35], s[66:67], v[40:41]
	v_mul_u64_e32 v[42:43], s[2:3], v[40:41]
	s_delay_alu instid0(VALU_DEP_3) | instskip(NEXT) | instid1(VALU_DEP_1)
	v_add_nc_u64_e32 v[38:39], v[44:45], v[38:39]
	v_add_co_u32 v3, vcc_lo, v38, v34
	s_delay_alu instid0(VALU_DEP_2) | instskip(NEXT) | instid1(VALU_DEP_4)
	v_add_co_ci_u32_e32 v44, vcc_lo, v39, v35, vcc_lo
	v_add_co_ci_u32_e32 v43, vcc_lo, 0, v43, vcc_lo
	s_delay_alu instid0(VALU_DEP_1) | instskip(NEXT) | instid1(VALU_DEP_1)
	v_add_nc_u64_e32 v[34:35], v[44:45], v[42:43]
	v_mul_u64_e32 v[38:39], s[56:57], v[34:35]
	s_delay_alu instid0(VALU_DEP_1) | instskip(NEXT) | instid1(VALU_DEP_2)
	v_sub_nc_u32_e32 v3, v40, v39
	v_sub_co_u32 v31, vcc_lo, v36, v38
	s_delay_alu instid0(VALU_DEP_1) | instskip(NEXT) | instid1(VALU_DEP_3)
	v_sub_co_ci_u32_e64 v40, null, v40, v39, vcc_lo
	v_subrev_co_ci_u32_e64 v3, null, s57, v3, vcc_lo
	s_delay_alu instid0(VALU_DEP_3) | instskip(SKIP_1) | instid1(VALU_DEP_3)
	v_sub_co_u32 v36, s2, v31, s56
	v_add_nc_u64_e32 v[38:39], 1, v[34:35]
	v_subrev_co_ci_u32_e64 v3, null, 0, v3, s2
	s_delay_alu instid0(VALU_DEP_3) | instskip(SKIP_1) | instid1(VALU_DEP_3)
	v_cmp_le_u32_e32 vcc_lo, s56, v36
	v_cndmask_b32_e64 v36, 0, -1, vcc_lo
	v_cmp_le_u32_e32 vcc_lo, s57, v3
	v_cndmask_b32_e64 v37, 0, -1, vcc_lo
	;; [unrolled: 2-line block ×4, first 2 shown]
	v_cmp_eq_u32_e32 vcc_lo, s57, v3
	v_cndmask_b32_e32 v3, v37, v36, vcc_lo
	v_cmp_eq_u32_e32 vcc_lo, s57, v40
	v_add_nc_u64_e32 v[36:37], 2, v[34:35]
	v_cndmask_b32_e32 v31, v41, v31, vcc_lo
	s_delay_alu instid0(VALU_DEP_4) | instskip(NEXT) | instid1(VALU_DEP_3)
	v_cmp_ne_u32_e32 vcc_lo, 0, v3
	v_cndmask_b32_e32 v3, v39, v37, vcc_lo
	s_delay_alu instid0(VALU_DEP_3) | instskip(SKIP_1) | instid1(VALU_DEP_2)
	v_cmp_ne_u32_e64 s2, 0, v31
	v_dual_cndmask_b32 v31, v38, v36, vcc_lo :: v_dual_bitop2_b32 v30, s54, v30 bitop3:0x14
	v_cndmask_b32_e64 v3, v35, v3, s2
	s_delay_alu instid0(VALU_DEP_2) | instskip(NEXT) | instid1(VALU_DEP_2)
	v_cndmask_b32_e64 v34, v34, v31, s2
	v_dual_mov_b32 v31, v30 :: v_dual_bitop2_b32 v35, v3, v30 bitop3:0x14
	s_delay_alu instid0(VALU_DEP_2) | instskip(NEXT) | instid1(VALU_DEP_1)
	v_xor_b32_e32 v34, v34, v30
	v_sub_nc_u64_e32 v[30:31], v[34:35], v[30:31]
.LBB15_51:                              ;   in Loop: Header=BB15_48 Depth=3
	s_and_not1_saveexec_b32 s2, s62
	s_cbranch_execz .LBB15_53
; %bb.52:                               ;   in Loop: Header=BB15_48 Depth=3
	v_cvt_f32_u32_e32 v3, s26
	s_sub_co_i32 s54, 0, s26
	s_delay_alu instid0(VALU_DEP_1) | instskip(SKIP_1) | instid1(TRANS32_DEP_1)
	v_rcp_iflag_f32_e32 v3, v3
	v_nop
	v_mul_f32_e32 v3, 0x4f7ffffe, v3
	s_delay_alu instid0(VALU_DEP_1) | instskip(NEXT) | instid1(VALU_DEP_1)
	v_cvt_u32_f32_e32 v3, v3
	v_mul_lo_u32 v30, s54, v3
	s_delay_alu instid0(VALU_DEP_1) | instskip(NEXT) | instid1(VALU_DEP_1)
	v_mul_hi_u32 v30, v3, v30
	v_add_nc_u32_e32 v3, v3, v30
	s_delay_alu instid0(VALU_DEP_1) | instskip(NEXT) | instid1(VALU_DEP_1)
	v_mul_hi_u32 v3, v24, v3
	v_mul_lo_u32 v30, v3, s26
	s_delay_alu instid0(VALU_DEP_1) | instskip(NEXT) | instid1(VALU_DEP_1)
	v_sub_nc_u32_e32 v30, v24, v30
	v_subrev_nc_u32_e32 v34, s26, v30
	v_cmp_le_u32_e32 vcc_lo, s26, v30
	s_delay_alu instid0(VALU_DEP_2) | instskip(NEXT) | instid1(VALU_DEP_1)
	v_dual_cndmask_b32 v30, v30, v34 :: v_dual_add_nc_u32 v31, 1, v3
	v_cndmask_b32_e32 v3, v3, v31, vcc_lo
	s_delay_alu instid0(VALU_DEP_2) | instskip(NEXT) | instid1(VALU_DEP_2)
	v_cmp_le_u32_e32 vcc_lo, s26, v30
	v_add_nc_u32_e32 v31, 1, v3
	s_delay_alu instid0(VALU_DEP_1)
	v_dual_cndmask_b32 v30, v3, v31 :: v_dual_mov_b32 v31, v2
.LBB15_53:                              ;   in Loop: Header=BB15_48 Depth=3
	s_or_b32 exec_lo, exec_lo, s2
	s_delay_alu instid0(VALU_DEP_1) | instskip(SKIP_1) | instid1(VALU_DEP_1)
	v_mul_u64_e32 v[34:35], s[26:27], v[30:31]
	s_mov_b32 s2, exec_lo
	v_sub_nc_u64_e32 v[34:35], v[24:25], v[34:35]
	s_delay_alu instid0(VALU_DEP_1)
	v_cmpx_eq_u64_e32 0, v[34:35]
	s_cbranch_execz .LBB15_46
; %bb.54:                               ;   in Loop: Header=BB15_48 Depth=3
	v_add_nc_u64_e32 v[30:31], v[22:23], v[30:31]
	s_delay_alu instid0(VALU_DEP_1) | instskip(NEXT) | instid1(VALU_DEP_1)
	v_mad_nc_u64_u32 v[34:35], v30, s36, v[14:15]
	v_mad_u32 v3, v31, s36, v35
	s_delay_alu instid0(VALU_DEP_2) | instskip(NEXT) | instid1(VALU_DEP_2)
	v_mad_nc_u64_u32 v[36:37], s48, v34, v[26:27]
	v_mad_u32 v3, v30, s37, v3
	s_delay_alu instid0(VALU_DEP_2) | instskip(NEXT) | instid1(VALU_DEP_1)
	v_mad_u32 v30, s49, v34, v37
	v_mad_u32 v37, s48, v3, v30
	v_lshlrev_b32_e32 v30, 16, v33
	global_load_u16 v3, v[36:37], off
	s_wait_loadcnt 0x0
	v_lshlrev_b32_e32 v3, 16, v3
	s_delay_alu instid0(VALU_DEP_1) | instskip(NEXT) | instid1(VALU_DEP_1)
	v_add_f32_e32 v3, v3, v30
	v_bfe_u32 v30, v3, 16, 1
	s_delay_alu instid0(VALU_DEP_1) | instskip(NEXT) | instid1(VALU_DEP_1)
	v_add3_u32 v30, v3, v30, 0x7fff
	v_lshrrev_b32_e32 v30, 16, v30
	v_cmp_o_f32_e32 vcc_lo, v3, v3
	s_delay_alu instid0(VALU_DEP_2)
	v_cndmask_b32_e32 v33, 0x7fc0, v30, vcc_lo
	s_branch .LBB15_46
.LBB15_55:
	s_endpgm
	.section	.rodata,"a",@progbits
	.p2align	6, 0x0
	.amdhsa_kernel _ZN2at6native13col2im_kernelIN3c108BFloat16ES3_EEvlPKT_llllllllllllPS4_
		.amdhsa_group_segment_fixed_size 0
		.amdhsa_private_segment_fixed_size 0
		.amdhsa_kernarg_size 376
		.amdhsa_user_sgpr_count 2
		.amdhsa_user_sgpr_dispatch_ptr 0
		.amdhsa_user_sgpr_queue_ptr 0
		.amdhsa_user_sgpr_kernarg_segment_ptr 1
		.amdhsa_user_sgpr_dispatch_id 0
		.amdhsa_user_sgpr_kernarg_preload_length 0
		.amdhsa_user_sgpr_kernarg_preload_offset 0
		.amdhsa_user_sgpr_private_segment_size 0
		.amdhsa_wavefront_size32 1
		.amdhsa_uses_dynamic_stack 0
		.amdhsa_enable_private_segment 0
		.amdhsa_system_sgpr_workgroup_id_x 1
		.amdhsa_system_sgpr_workgroup_id_y 0
		.amdhsa_system_sgpr_workgroup_id_z 0
		.amdhsa_system_sgpr_workgroup_info 0
		.amdhsa_system_vgpr_workitem_id 0
		.amdhsa_next_free_vgpr 46
		.amdhsa_next_free_sgpr 73
		.amdhsa_named_barrier_count 0
		.amdhsa_reserve_vcc 1
		.amdhsa_float_round_mode_32 0
		.amdhsa_float_round_mode_16_64 0
		.amdhsa_float_denorm_mode_32 3
		.amdhsa_float_denorm_mode_16_64 3
		.amdhsa_fp16_overflow 0
		.amdhsa_memory_ordered 1
		.amdhsa_forward_progress 1
		.amdhsa_inst_pref_size 59
		.amdhsa_round_robin_scheduling 0
		.amdhsa_exception_fp_ieee_invalid_op 0
		.amdhsa_exception_fp_denorm_src 0
		.amdhsa_exception_fp_ieee_div_zero 0
		.amdhsa_exception_fp_ieee_overflow 0
		.amdhsa_exception_fp_ieee_underflow 0
		.amdhsa_exception_fp_ieee_inexact 0
		.amdhsa_exception_int_div_zero 0
	.end_amdhsa_kernel
	.section	.text._ZN2at6native13col2im_kernelIN3c108BFloat16ES3_EEvlPKT_llllllllllllPS4_,"axG",@progbits,_ZN2at6native13col2im_kernelIN3c108BFloat16ES3_EEvlPKT_llllllllllllPS4_,comdat
.Lfunc_end15:
	.size	_ZN2at6native13col2im_kernelIN3c108BFloat16ES3_EEvlPKT_llllllllllllPS4_, .Lfunc_end15-_ZN2at6native13col2im_kernelIN3c108BFloat16ES3_EEvlPKT_llllllllllllPS4_
                                        ; -- End function
	.set _ZN2at6native13col2im_kernelIN3c108BFloat16ES3_EEvlPKT_llllllllllllPS4_.num_vgpr, 46
	.set _ZN2at6native13col2im_kernelIN3c108BFloat16ES3_EEvlPKT_llllllllllllPS4_.num_agpr, 0
	.set _ZN2at6native13col2im_kernelIN3c108BFloat16ES3_EEvlPKT_llllllllllllPS4_.numbered_sgpr, 73
	.set _ZN2at6native13col2im_kernelIN3c108BFloat16ES3_EEvlPKT_llllllllllllPS4_.num_named_barrier, 0
	.set _ZN2at6native13col2im_kernelIN3c108BFloat16ES3_EEvlPKT_llllllllllllPS4_.private_seg_size, 0
	.set _ZN2at6native13col2im_kernelIN3c108BFloat16ES3_EEvlPKT_llllllllllllPS4_.uses_vcc, 1
	.set _ZN2at6native13col2im_kernelIN3c108BFloat16ES3_EEvlPKT_llllllllllllPS4_.uses_flat_scratch, 0
	.set _ZN2at6native13col2im_kernelIN3c108BFloat16ES3_EEvlPKT_llllllllllllPS4_.has_dyn_sized_stack, 0
	.set _ZN2at6native13col2im_kernelIN3c108BFloat16ES3_EEvlPKT_llllllllllllPS4_.has_recursion, 0
	.set _ZN2at6native13col2im_kernelIN3c108BFloat16ES3_EEvlPKT_llllllllllllPS4_.has_indirect_call, 0
	.section	.AMDGPU.csdata,"",@progbits
; Kernel info:
; codeLenInByte = 7456
; TotalNumSgprs: 75
; NumVgprs: 46
; ScratchSize: 0
; MemoryBound: 0
; FloatMode: 240
; IeeeMode: 1
; LDSByteSize: 0 bytes/workgroup (compile time only)
; SGPRBlocks: 0
; VGPRBlocks: 2
; NumSGPRsForWavesPerEU: 75
; NumVGPRsForWavesPerEU: 46
; NamedBarCnt: 0
; Occupancy: 16
; WaveLimiterHint : 0
; COMPUTE_PGM_RSRC2:SCRATCH_EN: 0
; COMPUTE_PGM_RSRC2:USER_SGPR: 2
; COMPUTE_PGM_RSRC2:TRAP_HANDLER: 0
; COMPUTE_PGM_RSRC2:TGID_X_EN: 1
; COMPUTE_PGM_RSRC2:TGID_Y_EN: 0
; COMPUTE_PGM_RSRC2:TGID_Z_EN: 0
; COMPUTE_PGM_RSRC2:TIDIG_COMP_CNT: 0
	.section	.AMDGPU.gpr_maximums,"",@progbits
	.set amdgpu.max_num_vgpr, 0
	.set amdgpu.max_num_agpr, 0
	.set amdgpu.max_num_sgpr, 0
	.section	.AMDGPU.csdata,"",@progbits
	.type	__hip_cuid_beaf98660dcea686,@object ; @__hip_cuid_beaf98660dcea686
	.section	.bss,"aw",@nobits
	.globl	__hip_cuid_beaf98660dcea686
__hip_cuid_beaf98660dcea686:
	.byte	0                               ; 0x0
	.size	__hip_cuid_beaf98660dcea686, 1

	.ident	"AMD clang version 22.0.0git (https://github.com/RadeonOpenCompute/llvm-project roc-7.2.4 26084 f58b06dce1f9c15707c5f808fd002e18c2accf7e)"
	.section	".note.GNU-stack","",@progbits
	.addrsig
	.addrsig_sym __hip_cuid_beaf98660dcea686
	.amdgpu_metadata
---
amdhsa.kernels:
  - .args:
      - .offset:         0
        .size:           8
        .value_kind:     by_value
      - .address_space:  global
        .offset:         8
        .size:           8
        .value_kind:     global_buffer
      - .offset:         16
        .size:           4
        .value_kind:     by_value
      - .offset:         20
        .size:           4
        .value_kind:     by_value
      - .offset:         24
        .size:           4
        .value_kind:     by_value
      - .offset:         28
        .size:           4
        .value_kind:     by_value
      - .offset:         32
        .size:           4
        .value_kind:     by_value
      - .offset:         36
        .size:           4
        .value_kind:     by_value
      - .offset:         40
        .size:           4
        .value_kind:     by_value
      - .offset:         44
        .size:           4
        .value_kind:     by_value
      - .offset:         48
        .size:           4
        .value_kind:     by_value
      - .offset:         52
        .size:           4
        .value_kind:     by_value
      - .offset:         56
        .size:           4
        .value_kind:     by_value
      - .offset:         60
        .size:           4
        .value_kind:     by_value
      - .offset:         64
        .size:           4
        .value_kind:     by_value
      - .offset:         68
        .size:           4
        .value_kind:     by_value
      - .offset:         72
        .size:           4
        .value_kind:     by_value
      - .offset:         76
        .size:           4
        .value_kind:     by_value
      - .offset:         80
        .size:           4
        .value_kind:     by_value
      - .offset:         84
        .size:           4
        .value_kind:     by_value
      - .address_space:  global
        .offset:         88
        .size:           8
        .value_kind:     global_buffer
      - .offset:         96
        .size:           4
        .value_kind:     hidden_block_count_x
      - .offset:         100
        .size:           4
        .value_kind:     hidden_block_count_y
      - .offset:         104
        .size:           4
        .value_kind:     hidden_block_count_z
      - .offset:         108
        .size:           2
        .value_kind:     hidden_group_size_x
      - .offset:         110
        .size:           2
        .value_kind:     hidden_group_size_y
      - .offset:         112
        .size:           2
        .value_kind:     hidden_group_size_z
      - .offset:         114
        .size:           2
        .value_kind:     hidden_remainder_x
      - .offset:         116
        .size:           2
        .value_kind:     hidden_remainder_y
      - .offset:         118
        .size:           2
        .value_kind:     hidden_remainder_z
      - .offset:         136
        .size:           8
        .value_kind:     hidden_global_offset_x
      - .offset:         144
        .size:           8
        .value_kind:     hidden_global_offset_y
      - .offset:         152
        .size:           8
        .value_kind:     hidden_global_offset_z
      - .offset:         160
        .size:           2
        .value_kind:     hidden_grid_dims
    .group_segment_fixed_size: 0
    .kernarg_segment_align: 8
    .kernarg_segment_size: 352
    .language:       OpenCL C
    .language_version:
      - 2
      - 0
    .max_flat_workgroup_size: 1024
    .name:           _ZN2at6native14vol2col_kernelIdEEvlPKT_iiiiiiiiiiiiiiiiiiPS2_
    .private_segment_fixed_size: 0
    .sgpr_count:     68
    .sgpr_spill_count: 0
    .symbol:         _ZN2at6native14vol2col_kernelIdEEvlPKT_iiiiiiiiiiiiiiiiiiPS2_.kd
    .uniform_work_group_size: 1
    .uses_dynamic_stack: false
    .vgpr_count:     28
    .vgpr_spill_count: 0
    .wavefront_size: 32
  - .args:
      - .offset:         0
        .size:           8
        .value_kind:     by_value
      - .address_space:  global
        .offset:         8
        .size:           8
        .value_kind:     global_buffer
      - .offset:         16
        .size:           8
        .value_kind:     by_value
      - .offset:         24
        .size:           8
        .value_kind:     by_value
      - .offset:         32
        .size:           8
        .value_kind:     by_value
      - .offset:         40
        .size:           8
        .value_kind:     by_value
      - .offset:         48
        .size:           8
        .value_kind:     by_value
      - .offset:         56
        .size:           8
        .value_kind:     by_value
      - .offset:         64
        .size:           8
        .value_kind:     by_value
      - .offset:         72
        .size:           8
        .value_kind:     by_value
      - .offset:         80
        .size:           8
        .value_kind:     by_value
      - .offset:         88
        .size:           8
        .value_kind:     by_value
      - .offset:         96
        .size:           8
        .value_kind:     by_value
      - .offset:         104
        .size:           8
        .value_kind:     by_value
      - .address_space:  global
        .offset:         112
        .size:           8
        .value_kind:     global_buffer
      - .offset:         120
        .size:           4
        .value_kind:     hidden_block_count_x
      - .offset:         124
        .size:           4
        .value_kind:     hidden_block_count_y
      - .offset:         128
        .size:           4
        .value_kind:     hidden_block_count_z
      - .offset:         132
        .size:           2
        .value_kind:     hidden_group_size_x
      - .offset:         134
        .size:           2
        .value_kind:     hidden_group_size_y
      - .offset:         136
        .size:           2
        .value_kind:     hidden_group_size_z
      - .offset:         138
        .size:           2
        .value_kind:     hidden_remainder_x
      - .offset:         140
        .size:           2
        .value_kind:     hidden_remainder_y
      - .offset:         142
        .size:           2
        .value_kind:     hidden_remainder_z
      - .offset:         160
        .size:           8
        .value_kind:     hidden_global_offset_x
      - .offset:         168
        .size:           8
        .value_kind:     hidden_global_offset_y
      - .offset:         176
        .size:           8
        .value_kind:     hidden_global_offset_z
      - .offset:         184
        .size:           2
        .value_kind:     hidden_grid_dims
    .group_segment_fixed_size: 0
    .kernarg_segment_align: 8
    .kernarg_segment_size: 376
    .language:       OpenCL C
    .language_version:
      - 2
      - 0
    .max_flat_workgroup_size: 1024
    .name:           _ZN2at6native13im2col_kernelIdEEvlPKT_llllllllllllPS2_
    .private_segment_fixed_size: 0
    .sgpr_count:     70
    .sgpr_spill_count: 0
    .symbol:         _ZN2at6native13im2col_kernelIdEEvlPKT_llllllllllllPS2_.kd
    .uniform_work_group_size: 1
    .uses_dynamic_stack: false
    .vgpr_count:     22
    .vgpr_spill_count: 0
    .wavefront_size: 32
  - .args:
      - .offset:         0
        .size:           8
        .value_kind:     by_value
      - .address_space:  global
        .offset:         8
        .size:           8
        .value_kind:     global_buffer
      - .offset:         16
        .size:           4
        .value_kind:     by_value
      - .offset:         20
        .size:           4
        .value_kind:     by_value
      - .offset:         24
        .size:           4
        .value_kind:     by_value
      - .offset:         28
        .size:           4
        .value_kind:     by_value
      - .offset:         32
        .size:           4
        .value_kind:     by_value
      - .offset:         36
        .size:           4
        .value_kind:     by_value
      - .offset:         40
        .size:           4
        .value_kind:     by_value
      - .offset:         44
        .size:           4
        .value_kind:     by_value
      - .offset:         48
        .size:           4
        .value_kind:     by_value
      - .offset:         52
        .size:           4
        .value_kind:     by_value
      - .offset:         56
        .size:           4
        .value_kind:     by_value
      - .offset:         60
        .size:           4
        .value_kind:     by_value
      - .offset:         64
        .size:           4
        .value_kind:     by_value
      - .offset:         68
        .size:           4
        .value_kind:     by_value
      - .offset:         72
        .size:           4
        .value_kind:     by_value
      - .offset:         76
        .size:           4
        .value_kind:     by_value
      - .offset:         80
        .size:           4
        .value_kind:     by_value
      - .offset:         84
        .size:           4
        .value_kind:     by_value
      - .offset:         88
        .size:           4
        .value_kind:     by_value
      - .address_space:  global
        .offset:         96
        .size:           8
        .value_kind:     global_buffer
      - .offset:         104
        .size:           4
        .value_kind:     hidden_block_count_x
      - .offset:         108
        .size:           4
        .value_kind:     hidden_block_count_y
      - .offset:         112
        .size:           4
        .value_kind:     hidden_block_count_z
      - .offset:         116
        .size:           2
        .value_kind:     hidden_group_size_x
      - .offset:         118
        .size:           2
        .value_kind:     hidden_group_size_y
      - .offset:         120
        .size:           2
        .value_kind:     hidden_group_size_z
      - .offset:         122
        .size:           2
        .value_kind:     hidden_remainder_x
      - .offset:         124
        .size:           2
        .value_kind:     hidden_remainder_y
      - .offset:         126
        .size:           2
        .value_kind:     hidden_remainder_z
      - .offset:         144
        .size:           8
        .value_kind:     hidden_global_offset_x
      - .offset:         152
        .size:           8
        .value_kind:     hidden_global_offset_y
      - .offset:         160
        .size:           8
        .value_kind:     hidden_global_offset_z
      - .offset:         168
        .size:           2
        .value_kind:     hidden_grid_dims
    .group_segment_fixed_size: 0
    .kernarg_segment_align: 8
    .kernarg_segment_size: 360
    .language:       OpenCL C
    .language_version:
      - 2
      - 0
    .max_flat_workgroup_size: 1024
    .name:           _ZN2at6native13vol2im_kernelIddEEvlPKT_jjjjjjjjjjjjjjjjjjjPS2_
    .private_segment_fixed_size: 0
    .sgpr_count:     72
    .sgpr_spill_count: 0
    .symbol:         _ZN2at6native13vol2im_kernelIddEEvlPKT_jjjjjjjjjjjjjjjjjjjPS2_.kd
    .uniform_work_group_size: 1
    .uses_dynamic_stack: false
    .vgpr_count:     36
    .vgpr_spill_count: 0
    .wavefront_size: 32
  - .args:
      - .offset:         0
        .size:           8
        .value_kind:     by_value
      - .address_space:  global
        .offset:         8
        .size:           8
        .value_kind:     global_buffer
      - .offset:         16
        .size:           8
        .value_kind:     by_value
      - .offset:         24
        .size:           8
        .value_kind:     by_value
      - .offset:         32
        .size:           8
        .value_kind:     by_value
      - .offset:         40
        .size:           8
        .value_kind:     by_value
      - .offset:         48
        .size:           8
        .value_kind:     by_value
      - .offset:         56
        .size:           8
        .value_kind:     by_value
      - .offset:         64
        .size:           8
        .value_kind:     by_value
      - .offset:         72
        .size:           8
        .value_kind:     by_value
      - .offset:         80
        .size:           8
        .value_kind:     by_value
      - .offset:         88
        .size:           8
        .value_kind:     by_value
      - .offset:         96
        .size:           8
        .value_kind:     by_value
      - .offset:         104
        .size:           8
        .value_kind:     by_value
      - .address_space:  global
        .offset:         112
        .size:           8
        .value_kind:     global_buffer
      - .offset:         120
        .size:           4
        .value_kind:     hidden_block_count_x
      - .offset:         124
        .size:           4
        .value_kind:     hidden_block_count_y
      - .offset:         128
        .size:           4
        .value_kind:     hidden_block_count_z
      - .offset:         132
        .size:           2
        .value_kind:     hidden_group_size_x
      - .offset:         134
        .size:           2
        .value_kind:     hidden_group_size_y
      - .offset:         136
        .size:           2
        .value_kind:     hidden_group_size_z
      - .offset:         138
        .size:           2
        .value_kind:     hidden_remainder_x
      - .offset:         140
        .size:           2
        .value_kind:     hidden_remainder_y
      - .offset:         142
        .size:           2
        .value_kind:     hidden_remainder_z
      - .offset:         160
        .size:           8
        .value_kind:     hidden_global_offset_x
      - .offset:         168
        .size:           8
        .value_kind:     hidden_global_offset_y
      - .offset:         176
        .size:           8
        .value_kind:     hidden_global_offset_z
      - .offset:         184
        .size:           2
        .value_kind:     hidden_grid_dims
    .group_segment_fixed_size: 0
    .kernarg_segment_align: 8
    .kernarg_segment_size: 376
    .language:       OpenCL C
    .language_version:
      - 2
      - 0
    .max_flat_workgroup_size: 512
    .name:           _ZN2at6native13col2im_kernelIddEEvlPKT_llllllllllllPS2_
    .private_segment_fixed_size: 0
    .sgpr_count:     75
    .sgpr_spill_count: 0
    .symbol:         _ZN2at6native13col2im_kernelIddEEvlPKT_llllllllllllPS2_.kd
    .uniform_work_group_size: 1
    .uses_dynamic_stack: false
    .vgpr_count:     48
    .vgpr_spill_count: 0
    .wavefront_size: 32
  - .args:
      - .offset:         0
        .size:           8
        .value_kind:     by_value
      - .address_space:  global
        .offset:         8
        .size:           8
        .value_kind:     global_buffer
      - .offset:         16
        .size:           4
        .value_kind:     by_value
      - .offset:         20
        .size:           4
        .value_kind:     by_value
      - .offset:         24
        .size:           4
        .value_kind:     by_value
      - .offset:         28
        .size:           4
        .value_kind:     by_value
      - .offset:         32
        .size:           4
        .value_kind:     by_value
      - .offset:         36
        .size:           4
        .value_kind:     by_value
      - .offset:         40
        .size:           4
        .value_kind:     by_value
      - .offset:         44
        .size:           4
        .value_kind:     by_value
      - .offset:         48
        .size:           4
        .value_kind:     by_value
      - .offset:         52
        .size:           4
        .value_kind:     by_value
      - .offset:         56
        .size:           4
        .value_kind:     by_value
      - .offset:         60
        .size:           4
        .value_kind:     by_value
      - .offset:         64
        .size:           4
        .value_kind:     by_value
      - .offset:         68
        .size:           4
        .value_kind:     by_value
      - .offset:         72
        .size:           4
        .value_kind:     by_value
      - .offset:         76
        .size:           4
        .value_kind:     by_value
      - .offset:         80
        .size:           4
        .value_kind:     by_value
      - .offset:         84
        .size:           4
        .value_kind:     by_value
      - .address_space:  global
        .offset:         88
        .size:           8
        .value_kind:     global_buffer
      - .offset:         96
        .size:           4
        .value_kind:     hidden_block_count_x
      - .offset:         100
        .size:           4
        .value_kind:     hidden_block_count_y
      - .offset:         104
        .size:           4
        .value_kind:     hidden_block_count_z
      - .offset:         108
        .size:           2
        .value_kind:     hidden_group_size_x
      - .offset:         110
        .size:           2
        .value_kind:     hidden_group_size_y
      - .offset:         112
        .size:           2
        .value_kind:     hidden_group_size_z
      - .offset:         114
        .size:           2
        .value_kind:     hidden_remainder_x
      - .offset:         116
        .size:           2
        .value_kind:     hidden_remainder_y
      - .offset:         118
        .size:           2
        .value_kind:     hidden_remainder_z
      - .offset:         136
        .size:           8
        .value_kind:     hidden_global_offset_x
      - .offset:         144
        .size:           8
        .value_kind:     hidden_global_offset_y
      - .offset:         152
        .size:           8
        .value_kind:     hidden_global_offset_z
      - .offset:         160
        .size:           2
        .value_kind:     hidden_grid_dims
    .group_segment_fixed_size: 0
    .kernarg_segment_align: 8
    .kernarg_segment_size: 352
    .language:       OpenCL C
    .language_version:
      - 2
      - 0
    .max_flat_workgroup_size: 1024
    .name:           _ZN2at6native14vol2col_kernelIfEEvlPKT_iiiiiiiiiiiiiiiiiiPS2_
    .private_segment_fixed_size: 0
    .sgpr_count:     68
    .sgpr_spill_count: 0
    .symbol:         _ZN2at6native14vol2col_kernelIfEEvlPKT_iiiiiiiiiiiiiiiiiiPS2_.kd
    .uniform_work_group_size: 1
    .uses_dynamic_stack: false
    .vgpr_count:     28
    .vgpr_spill_count: 0
    .wavefront_size: 32
  - .args:
      - .offset:         0
        .size:           8
        .value_kind:     by_value
      - .address_space:  global
        .offset:         8
        .size:           8
        .value_kind:     global_buffer
      - .offset:         16
        .size:           8
        .value_kind:     by_value
      - .offset:         24
        .size:           8
        .value_kind:     by_value
      - .offset:         32
        .size:           8
        .value_kind:     by_value
      - .offset:         40
        .size:           8
        .value_kind:     by_value
      - .offset:         48
        .size:           8
        .value_kind:     by_value
      - .offset:         56
        .size:           8
        .value_kind:     by_value
      - .offset:         64
        .size:           8
        .value_kind:     by_value
      - .offset:         72
        .size:           8
        .value_kind:     by_value
      - .offset:         80
        .size:           8
        .value_kind:     by_value
      - .offset:         88
        .size:           8
        .value_kind:     by_value
      - .offset:         96
        .size:           8
        .value_kind:     by_value
      - .offset:         104
        .size:           8
        .value_kind:     by_value
      - .address_space:  global
        .offset:         112
        .size:           8
        .value_kind:     global_buffer
      - .offset:         120
        .size:           4
        .value_kind:     hidden_block_count_x
      - .offset:         124
        .size:           4
        .value_kind:     hidden_block_count_y
      - .offset:         128
        .size:           4
        .value_kind:     hidden_block_count_z
      - .offset:         132
        .size:           2
        .value_kind:     hidden_group_size_x
      - .offset:         134
        .size:           2
        .value_kind:     hidden_group_size_y
      - .offset:         136
        .size:           2
        .value_kind:     hidden_group_size_z
      - .offset:         138
        .size:           2
        .value_kind:     hidden_remainder_x
      - .offset:         140
        .size:           2
        .value_kind:     hidden_remainder_y
      - .offset:         142
        .size:           2
        .value_kind:     hidden_remainder_z
      - .offset:         160
        .size:           8
        .value_kind:     hidden_global_offset_x
      - .offset:         168
        .size:           8
        .value_kind:     hidden_global_offset_y
      - .offset:         176
        .size:           8
        .value_kind:     hidden_global_offset_z
      - .offset:         184
        .size:           2
        .value_kind:     hidden_grid_dims
    .group_segment_fixed_size: 0
    .kernarg_segment_align: 8
    .kernarg_segment_size: 376
    .language:       OpenCL C
    .language_version:
      - 2
      - 0
    .max_flat_workgroup_size: 1024
    .name:           _ZN2at6native13im2col_kernelIfEEvlPKT_llllllllllllPS2_
    .private_segment_fixed_size: 0
    .sgpr_count:     70
    .sgpr_spill_count: 0
    .symbol:         _ZN2at6native13im2col_kernelIfEEvlPKT_llllllllllllPS2_.kd
    .uniform_work_group_size: 1
    .uses_dynamic_stack: false
    .vgpr_count:     22
    .vgpr_spill_count: 0
    .wavefront_size: 32
  - .args:
      - .offset:         0
        .size:           8
        .value_kind:     by_value
      - .address_space:  global
        .offset:         8
        .size:           8
        .value_kind:     global_buffer
      - .offset:         16
        .size:           4
        .value_kind:     by_value
      - .offset:         20
        .size:           4
        .value_kind:     by_value
      - .offset:         24
        .size:           4
        .value_kind:     by_value
      - .offset:         28
        .size:           4
        .value_kind:     by_value
      - .offset:         32
        .size:           4
        .value_kind:     by_value
      - .offset:         36
        .size:           4
        .value_kind:     by_value
      - .offset:         40
        .size:           4
        .value_kind:     by_value
      - .offset:         44
        .size:           4
        .value_kind:     by_value
      - .offset:         48
        .size:           4
        .value_kind:     by_value
      - .offset:         52
        .size:           4
        .value_kind:     by_value
      - .offset:         56
        .size:           4
        .value_kind:     by_value
      - .offset:         60
        .size:           4
        .value_kind:     by_value
      - .offset:         64
        .size:           4
        .value_kind:     by_value
      - .offset:         68
        .size:           4
        .value_kind:     by_value
      - .offset:         72
        .size:           4
        .value_kind:     by_value
      - .offset:         76
        .size:           4
        .value_kind:     by_value
      - .offset:         80
        .size:           4
        .value_kind:     by_value
      - .offset:         84
        .size:           4
        .value_kind:     by_value
      - .offset:         88
        .size:           4
        .value_kind:     by_value
      - .address_space:  global
        .offset:         96
        .size:           8
        .value_kind:     global_buffer
      - .offset:         104
        .size:           4
        .value_kind:     hidden_block_count_x
      - .offset:         108
        .size:           4
        .value_kind:     hidden_block_count_y
      - .offset:         112
        .size:           4
        .value_kind:     hidden_block_count_z
      - .offset:         116
        .size:           2
        .value_kind:     hidden_group_size_x
      - .offset:         118
        .size:           2
        .value_kind:     hidden_group_size_y
      - .offset:         120
        .size:           2
        .value_kind:     hidden_group_size_z
      - .offset:         122
        .size:           2
        .value_kind:     hidden_remainder_x
      - .offset:         124
        .size:           2
        .value_kind:     hidden_remainder_y
      - .offset:         126
        .size:           2
        .value_kind:     hidden_remainder_z
      - .offset:         144
        .size:           8
        .value_kind:     hidden_global_offset_x
      - .offset:         152
        .size:           8
        .value_kind:     hidden_global_offset_y
      - .offset:         160
        .size:           8
        .value_kind:     hidden_global_offset_z
      - .offset:         168
        .size:           2
        .value_kind:     hidden_grid_dims
    .group_segment_fixed_size: 0
    .kernarg_segment_align: 8
    .kernarg_segment_size: 360
    .language:       OpenCL C
    .language_version:
      - 2
      - 0
    .max_flat_workgroup_size: 1024
    .name:           _ZN2at6native13vol2im_kernelIffEEvlPKT_jjjjjjjjjjjjjjjjjjjPS2_
    .private_segment_fixed_size: 0
    .sgpr_count:     72
    .sgpr_spill_count: 0
    .symbol:         _ZN2at6native13vol2im_kernelIffEEvlPKT_jjjjjjjjjjjjjjjjjjjPS2_.kd
    .uniform_work_group_size: 1
    .uses_dynamic_stack: false
    .vgpr_count:     36
    .vgpr_spill_count: 0
    .wavefront_size: 32
  - .args:
      - .offset:         0
        .size:           8
        .value_kind:     by_value
      - .address_space:  global
        .offset:         8
        .size:           8
        .value_kind:     global_buffer
      - .offset:         16
        .size:           8
        .value_kind:     by_value
      - .offset:         24
        .size:           8
        .value_kind:     by_value
      - .offset:         32
        .size:           8
        .value_kind:     by_value
      - .offset:         40
        .size:           8
        .value_kind:     by_value
      - .offset:         48
        .size:           8
        .value_kind:     by_value
      - .offset:         56
        .size:           8
        .value_kind:     by_value
      - .offset:         64
        .size:           8
        .value_kind:     by_value
      - .offset:         72
        .size:           8
        .value_kind:     by_value
      - .offset:         80
        .size:           8
        .value_kind:     by_value
      - .offset:         88
        .size:           8
        .value_kind:     by_value
      - .offset:         96
        .size:           8
        .value_kind:     by_value
      - .offset:         104
        .size:           8
        .value_kind:     by_value
      - .address_space:  global
        .offset:         112
        .size:           8
        .value_kind:     global_buffer
      - .offset:         120
        .size:           4
        .value_kind:     hidden_block_count_x
      - .offset:         124
        .size:           4
        .value_kind:     hidden_block_count_y
      - .offset:         128
        .size:           4
        .value_kind:     hidden_block_count_z
      - .offset:         132
        .size:           2
        .value_kind:     hidden_group_size_x
      - .offset:         134
        .size:           2
        .value_kind:     hidden_group_size_y
      - .offset:         136
        .size:           2
        .value_kind:     hidden_group_size_z
      - .offset:         138
        .size:           2
        .value_kind:     hidden_remainder_x
      - .offset:         140
        .size:           2
        .value_kind:     hidden_remainder_y
      - .offset:         142
        .size:           2
        .value_kind:     hidden_remainder_z
      - .offset:         160
        .size:           8
        .value_kind:     hidden_global_offset_x
      - .offset:         168
        .size:           8
        .value_kind:     hidden_global_offset_y
      - .offset:         176
        .size:           8
        .value_kind:     hidden_global_offset_z
      - .offset:         184
        .size:           2
        .value_kind:     hidden_grid_dims
    .group_segment_fixed_size: 0
    .kernarg_segment_align: 8
    .kernarg_segment_size: 376
    .language:       OpenCL C
    .language_version:
      - 2
      - 0
    .max_flat_workgroup_size: 512
    .name:           _ZN2at6native13col2im_kernelIffEEvlPKT_llllllllllllPS2_
    .private_segment_fixed_size: 0
    .sgpr_count:     75
    .sgpr_spill_count: 0
    .symbol:         _ZN2at6native13col2im_kernelIffEEvlPKT_llllllllllllPS2_.kd
    .uniform_work_group_size: 1
    .uses_dynamic_stack: false
    .vgpr_count:     46
    .vgpr_spill_count: 0
    .wavefront_size: 32
  - .args:
      - .offset:         0
        .size:           8
        .value_kind:     by_value
      - .address_space:  global
        .offset:         8
        .size:           8
        .value_kind:     global_buffer
      - .offset:         16
        .size:           4
        .value_kind:     by_value
      - .offset:         20
        .size:           4
        .value_kind:     by_value
      - .offset:         24
        .size:           4
        .value_kind:     by_value
      - .offset:         28
        .size:           4
        .value_kind:     by_value
      - .offset:         32
        .size:           4
        .value_kind:     by_value
      - .offset:         36
        .size:           4
        .value_kind:     by_value
      - .offset:         40
        .size:           4
        .value_kind:     by_value
      - .offset:         44
        .size:           4
        .value_kind:     by_value
      - .offset:         48
        .size:           4
        .value_kind:     by_value
      - .offset:         52
        .size:           4
        .value_kind:     by_value
      - .offset:         56
        .size:           4
        .value_kind:     by_value
      - .offset:         60
        .size:           4
        .value_kind:     by_value
      - .offset:         64
        .size:           4
        .value_kind:     by_value
      - .offset:         68
        .size:           4
        .value_kind:     by_value
      - .offset:         72
        .size:           4
        .value_kind:     by_value
      - .offset:         76
        .size:           4
        .value_kind:     by_value
      - .offset:         80
        .size:           4
        .value_kind:     by_value
      - .offset:         84
        .size:           4
        .value_kind:     by_value
      - .address_space:  global
        .offset:         88
        .size:           8
        .value_kind:     global_buffer
      - .offset:         96
        .size:           4
        .value_kind:     hidden_block_count_x
      - .offset:         100
        .size:           4
        .value_kind:     hidden_block_count_y
      - .offset:         104
        .size:           4
        .value_kind:     hidden_block_count_z
      - .offset:         108
        .size:           2
        .value_kind:     hidden_group_size_x
      - .offset:         110
        .size:           2
        .value_kind:     hidden_group_size_y
      - .offset:         112
        .size:           2
        .value_kind:     hidden_group_size_z
      - .offset:         114
        .size:           2
        .value_kind:     hidden_remainder_x
      - .offset:         116
        .size:           2
        .value_kind:     hidden_remainder_y
      - .offset:         118
        .size:           2
        .value_kind:     hidden_remainder_z
      - .offset:         136
        .size:           8
        .value_kind:     hidden_global_offset_x
      - .offset:         144
        .size:           8
        .value_kind:     hidden_global_offset_y
      - .offset:         152
        .size:           8
        .value_kind:     hidden_global_offset_z
      - .offset:         160
        .size:           2
        .value_kind:     hidden_grid_dims
    .group_segment_fixed_size: 0
    .kernarg_segment_align: 8
    .kernarg_segment_size: 352
    .language:       OpenCL C
    .language_version:
      - 2
      - 0
    .max_flat_workgroup_size: 1024
    .name:           _ZN2at6native14vol2col_kernelIN3c104HalfEEEvlPKT_iiiiiiiiiiiiiiiiiiPS4_
    .private_segment_fixed_size: 0
    .sgpr_count:     68
    .sgpr_spill_count: 0
    .symbol:         _ZN2at6native14vol2col_kernelIN3c104HalfEEEvlPKT_iiiiiiiiiiiiiiiiiiPS4_.kd
    .uniform_work_group_size: 1
    .uses_dynamic_stack: false
    .vgpr_count:     28
    .vgpr_spill_count: 0
    .wavefront_size: 32
  - .args:
      - .offset:         0
        .size:           8
        .value_kind:     by_value
      - .address_space:  global
        .offset:         8
        .size:           8
        .value_kind:     global_buffer
      - .offset:         16
        .size:           8
        .value_kind:     by_value
      - .offset:         24
        .size:           8
        .value_kind:     by_value
      - .offset:         32
        .size:           8
        .value_kind:     by_value
      - .offset:         40
        .size:           8
        .value_kind:     by_value
      - .offset:         48
        .size:           8
        .value_kind:     by_value
      - .offset:         56
        .size:           8
        .value_kind:     by_value
      - .offset:         64
        .size:           8
        .value_kind:     by_value
      - .offset:         72
        .size:           8
        .value_kind:     by_value
      - .offset:         80
        .size:           8
        .value_kind:     by_value
      - .offset:         88
        .size:           8
        .value_kind:     by_value
      - .offset:         96
        .size:           8
        .value_kind:     by_value
      - .offset:         104
        .size:           8
        .value_kind:     by_value
      - .address_space:  global
        .offset:         112
        .size:           8
        .value_kind:     global_buffer
      - .offset:         120
        .size:           4
        .value_kind:     hidden_block_count_x
      - .offset:         124
        .size:           4
        .value_kind:     hidden_block_count_y
      - .offset:         128
        .size:           4
        .value_kind:     hidden_block_count_z
      - .offset:         132
        .size:           2
        .value_kind:     hidden_group_size_x
      - .offset:         134
        .size:           2
        .value_kind:     hidden_group_size_y
      - .offset:         136
        .size:           2
        .value_kind:     hidden_group_size_z
      - .offset:         138
        .size:           2
        .value_kind:     hidden_remainder_x
      - .offset:         140
        .size:           2
        .value_kind:     hidden_remainder_y
      - .offset:         142
        .size:           2
        .value_kind:     hidden_remainder_z
      - .offset:         160
        .size:           8
        .value_kind:     hidden_global_offset_x
      - .offset:         168
        .size:           8
        .value_kind:     hidden_global_offset_y
      - .offset:         176
        .size:           8
        .value_kind:     hidden_global_offset_z
      - .offset:         184
        .size:           2
        .value_kind:     hidden_grid_dims
    .group_segment_fixed_size: 0
    .kernarg_segment_align: 8
    .kernarg_segment_size: 376
    .language:       OpenCL C
    .language_version:
      - 2
      - 0
    .max_flat_workgroup_size: 1024
    .name:           _ZN2at6native13im2col_kernelIN3c104HalfEEEvlPKT_llllllllllllPS4_
    .private_segment_fixed_size: 0
    .sgpr_count:     70
    .sgpr_spill_count: 0
    .symbol:         _ZN2at6native13im2col_kernelIN3c104HalfEEEvlPKT_llllllllllllPS4_.kd
    .uniform_work_group_size: 1
    .uses_dynamic_stack: false
    .vgpr_count:     22
    .vgpr_spill_count: 0
    .wavefront_size: 32
  - .args:
      - .offset:         0
        .size:           8
        .value_kind:     by_value
      - .address_space:  global
        .offset:         8
        .size:           8
        .value_kind:     global_buffer
      - .offset:         16
        .size:           4
        .value_kind:     by_value
      - .offset:         20
        .size:           4
        .value_kind:     by_value
      - .offset:         24
        .size:           4
        .value_kind:     by_value
      - .offset:         28
        .size:           4
        .value_kind:     by_value
      - .offset:         32
        .size:           4
        .value_kind:     by_value
      - .offset:         36
        .size:           4
        .value_kind:     by_value
      - .offset:         40
        .size:           4
        .value_kind:     by_value
      - .offset:         44
        .size:           4
        .value_kind:     by_value
      - .offset:         48
        .size:           4
        .value_kind:     by_value
      - .offset:         52
        .size:           4
        .value_kind:     by_value
      - .offset:         56
        .size:           4
        .value_kind:     by_value
      - .offset:         60
        .size:           4
        .value_kind:     by_value
      - .offset:         64
        .size:           4
        .value_kind:     by_value
      - .offset:         68
        .size:           4
        .value_kind:     by_value
      - .offset:         72
        .size:           4
        .value_kind:     by_value
      - .offset:         76
        .size:           4
        .value_kind:     by_value
      - .offset:         80
        .size:           4
        .value_kind:     by_value
      - .offset:         84
        .size:           4
        .value_kind:     by_value
      - .offset:         88
        .size:           4
        .value_kind:     by_value
      - .address_space:  global
        .offset:         96
        .size:           8
        .value_kind:     global_buffer
      - .offset:         104
        .size:           4
        .value_kind:     hidden_block_count_x
      - .offset:         108
        .size:           4
        .value_kind:     hidden_block_count_y
      - .offset:         112
        .size:           4
        .value_kind:     hidden_block_count_z
      - .offset:         116
        .size:           2
        .value_kind:     hidden_group_size_x
      - .offset:         118
        .size:           2
        .value_kind:     hidden_group_size_y
      - .offset:         120
        .size:           2
        .value_kind:     hidden_group_size_z
      - .offset:         122
        .size:           2
        .value_kind:     hidden_remainder_x
      - .offset:         124
        .size:           2
        .value_kind:     hidden_remainder_y
      - .offset:         126
        .size:           2
        .value_kind:     hidden_remainder_z
      - .offset:         144
        .size:           8
        .value_kind:     hidden_global_offset_x
      - .offset:         152
        .size:           8
        .value_kind:     hidden_global_offset_y
      - .offset:         160
        .size:           8
        .value_kind:     hidden_global_offset_z
      - .offset:         168
        .size:           2
        .value_kind:     hidden_grid_dims
    .group_segment_fixed_size: 0
    .kernarg_segment_align: 8
    .kernarg_segment_size: 360
    .language:       OpenCL C
    .language_version:
      - 2
      - 0
    .max_flat_workgroup_size: 1024
    .name:           _ZN2at6native13vol2im_kernelIN3c104HalfES3_EEvlPKT_jjjjjjjjjjjjjjjjjjjPS4_
    .private_segment_fixed_size: 0
    .sgpr_count:     72
    .sgpr_spill_count: 0
    .symbol:         _ZN2at6native13vol2im_kernelIN3c104HalfES3_EEvlPKT_jjjjjjjjjjjjjjjjjjjPS4_.kd
    .uniform_work_group_size: 1
    .uses_dynamic_stack: false
    .vgpr_count:     36
    .vgpr_spill_count: 0
    .wavefront_size: 32
  - .args:
      - .offset:         0
        .size:           8
        .value_kind:     by_value
      - .address_space:  global
        .offset:         8
        .size:           8
        .value_kind:     global_buffer
      - .offset:         16
        .size:           8
        .value_kind:     by_value
      - .offset:         24
        .size:           8
        .value_kind:     by_value
      - .offset:         32
        .size:           8
        .value_kind:     by_value
      - .offset:         40
        .size:           8
        .value_kind:     by_value
      - .offset:         48
        .size:           8
        .value_kind:     by_value
      - .offset:         56
        .size:           8
        .value_kind:     by_value
      - .offset:         64
        .size:           8
        .value_kind:     by_value
      - .offset:         72
        .size:           8
        .value_kind:     by_value
      - .offset:         80
        .size:           8
        .value_kind:     by_value
      - .offset:         88
        .size:           8
        .value_kind:     by_value
      - .offset:         96
        .size:           8
        .value_kind:     by_value
      - .offset:         104
        .size:           8
        .value_kind:     by_value
      - .address_space:  global
        .offset:         112
        .size:           8
        .value_kind:     global_buffer
      - .offset:         120
        .size:           4
        .value_kind:     hidden_block_count_x
      - .offset:         124
        .size:           4
        .value_kind:     hidden_block_count_y
      - .offset:         128
        .size:           4
        .value_kind:     hidden_block_count_z
      - .offset:         132
        .size:           2
        .value_kind:     hidden_group_size_x
      - .offset:         134
        .size:           2
        .value_kind:     hidden_group_size_y
      - .offset:         136
        .size:           2
        .value_kind:     hidden_group_size_z
      - .offset:         138
        .size:           2
        .value_kind:     hidden_remainder_x
      - .offset:         140
        .size:           2
        .value_kind:     hidden_remainder_y
      - .offset:         142
        .size:           2
        .value_kind:     hidden_remainder_z
      - .offset:         160
        .size:           8
        .value_kind:     hidden_global_offset_x
      - .offset:         168
        .size:           8
        .value_kind:     hidden_global_offset_y
      - .offset:         176
        .size:           8
        .value_kind:     hidden_global_offset_z
      - .offset:         184
        .size:           2
        .value_kind:     hidden_grid_dims
    .group_segment_fixed_size: 0
    .kernarg_segment_align: 8
    .kernarg_segment_size: 376
    .language:       OpenCL C
    .language_version:
      - 2
      - 0
    .max_flat_workgroup_size: 512
    .name:           _ZN2at6native13col2im_kernelIN3c104HalfES3_EEvlPKT_llllllllllllPS4_
    .private_segment_fixed_size: 0
    .sgpr_count:     75
    .sgpr_spill_count: 0
    .symbol:         _ZN2at6native13col2im_kernelIN3c104HalfES3_EEvlPKT_llllllllllllPS4_.kd
    .uniform_work_group_size: 1
    .uses_dynamic_stack: false
    .vgpr_count:     46
    .vgpr_spill_count: 0
    .wavefront_size: 32
  - .args:
      - .offset:         0
        .size:           8
        .value_kind:     by_value
      - .address_space:  global
        .offset:         8
        .size:           8
        .value_kind:     global_buffer
      - .offset:         16
        .size:           4
        .value_kind:     by_value
      - .offset:         20
        .size:           4
        .value_kind:     by_value
      - .offset:         24
        .size:           4
        .value_kind:     by_value
      - .offset:         28
        .size:           4
        .value_kind:     by_value
      - .offset:         32
        .size:           4
        .value_kind:     by_value
      - .offset:         36
        .size:           4
        .value_kind:     by_value
      - .offset:         40
        .size:           4
        .value_kind:     by_value
      - .offset:         44
        .size:           4
        .value_kind:     by_value
      - .offset:         48
        .size:           4
        .value_kind:     by_value
      - .offset:         52
        .size:           4
        .value_kind:     by_value
      - .offset:         56
        .size:           4
        .value_kind:     by_value
      - .offset:         60
        .size:           4
        .value_kind:     by_value
      - .offset:         64
        .size:           4
        .value_kind:     by_value
      - .offset:         68
        .size:           4
        .value_kind:     by_value
      - .offset:         72
        .size:           4
        .value_kind:     by_value
      - .offset:         76
        .size:           4
        .value_kind:     by_value
      - .offset:         80
        .size:           4
        .value_kind:     by_value
      - .offset:         84
        .size:           4
        .value_kind:     by_value
      - .address_space:  global
        .offset:         88
        .size:           8
        .value_kind:     global_buffer
      - .offset:         96
        .size:           4
        .value_kind:     hidden_block_count_x
      - .offset:         100
        .size:           4
        .value_kind:     hidden_block_count_y
      - .offset:         104
        .size:           4
        .value_kind:     hidden_block_count_z
      - .offset:         108
        .size:           2
        .value_kind:     hidden_group_size_x
      - .offset:         110
        .size:           2
        .value_kind:     hidden_group_size_y
      - .offset:         112
        .size:           2
        .value_kind:     hidden_group_size_z
      - .offset:         114
        .size:           2
        .value_kind:     hidden_remainder_x
      - .offset:         116
        .size:           2
        .value_kind:     hidden_remainder_y
      - .offset:         118
        .size:           2
        .value_kind:     hidden_remainder_z
      - .offset:         136
        .size:           8
        .value_kind:     hidden_global_offset_x
      - .offset:         144
        .size:           8
        .value_kind:     hidden_global_offset_y
      - .offset:         152
        .size:           8
        .value_kind:     hidden_global_offset_z
      - .offset:         160
        .size:           2
        .value_kind:     hidden_grid_dims
    .group_segment_fixed_size: 0
    .kernarg_segment_align: 8
    .kernarg_segment_size: 352
    .language:       OpenCL C
    .language_version:
      - 2
      - 0
    .max_flat_workgroup_size: 1024
    .name:           _ZN2at6native14vol2col_kernelIN3c108BFloat16EEEvlPKT_iiiiiiiiiiiiiiiiiiPS4_
    .private_segment_fixed_size: 0
    .sgpr_count:     68
    .sgpr_spill_count: 0
    .symbol:         _ZN2at6native14vol2col_kernelIN3c108BFloat16EEEvlPKT_iiiiiiiiiiiiiiiiiiPS4_.kd
    .uniform_work_group_size: 1
    .uses_dynamic_stack: false
    .vgpr_count:     28
    .vgpr_spill_count: 0
    .wavefront_size: 32
  - .args:
      - .offset:         0
        .size:           8
        .value_kind:     by_value
      - .address_space:  global
        .offset:         8
        .size:           8
        .value_kind:     global_buffer
      - .offset:         16
        .size:           8
        .value_kind:     by_value
      - .offset:         24
        .size:           8
        .value_kind:     by_value
      - .offset:         32
        .size:           8
        .value_kind:     by_value
      - .offset:         40
        .size:           8
        .value_kind:     by_value
      - .offset:         48
        .size:           8
        .value_kind:     by_value
      - .offset:         56
        .size:           8
        .value_kind:     by_value
      - .offset:         64
        .size:           8
        .value_kind:     by_value
      - .offset:         72
        .size:           8
        .value_kind:     by_value
      - .offset:         80
        .size:           8
        .value_kind:     by_value
      - .offset:         88
        .size:           8
        .value_kind:     by_value
      - .offset:         96
        .size:           8
        .value_kind:     by_value
      - .offset:         104
        .size:           8
        .value_kind:     by_value
      - .address_space:  global
        .offset:         112
        .size:           8
        .value_kind:     global_buffer
      - .offset:         120
        .size:           4
        .value_kind:     hidden_block_count_x
      - .offset:         124
        .size:           4
        .value_kind:     hidden_block_count_y
      - .offset:         128
        .size:           4
        .value_kind:     hidden_block_count_z
      - .offset:         132
        .size:           2
        .value_kind:     hidden_group_size_x
      - .offset:         134
        .size:           2
        .value_kind:     hidden_group_size_y
      - .offset:         136
        .size:           2
        .value_kind:     hidden_group_size_z
      - .offset:         138
        .size:           2
        .value_kind:     hidden_remainder_x
      - .offset:         140
        .size:           2
        .value_kind:     hidden_remainder_y
      - .offset:         142
        .size:           2
        .value_kind:     hidden_remainder_z
      - .offset:         160
        .size:           8
        .value_kind:     hidden_global_offset_x
      - .offset:         168
        .size:           8
        .value_kind:     hidden_global_offset_y
      - .offset:         176
        .size:           8
        .value_kind:     hidden_global_offset_z
      - .offset:         184
        .size:           2
        .value_kind:     hidden_grid_dims
    .group_segment_fixed_size: 0
    .kernarg_segment_align: 8
    .kernarg_segment_size: 376
    .language:       OpenCL C
    .language_version:
      - 2
      - 0
    .max_flat_workgroup_size: 1024
    .name:           _ZN2at6native13im2col_kernelIN3c108BFloat16EEEvlPKT_llllllllllllPS4_
    .private_segment_fixed_size: 0
    .sgpr_count:     70
    .sgpr_spill_count: 0
    .symbol:         _ZN2at6native13im2col_kernelIN3c108BFloat16EEEvlPKT_llllllllllllPS4_.kd
    .uniform_work_group_size: 1
    .uses_dynamic_stack: false
    .vgpr_count:     22
    .vgpr_spill_count: 0
    .wavefront_size: 32
  - .args:
      - .offset:         0
        .size:           8
        .value_kind:     by_value
      - .address_space:  global
        .offset:         8
        .size:           8
        .value_kind:     global_buffer
      - .offset:         16
        .size:           4
        .value_kind:     by_value
      - .offset:         20
        .size:           4
        .value_kind:     by_value
      - .offset:         24
        .size:           4
        .value_kind:     by_value
      - .offset:         28
        .size:           4
        .value_kind:     by_value
      - .offset:         32
        .size:           4
        .value_kind:     by_value
      - .offset:         36
        .size:           4
        .value_kind:     by_value
      - .offset:         40
        .size:           4
        .value_kind:     by_value
      - .offset:         44
        .size:           4
        .value_kind:     by_value
      - .offset:         48
        .size:           4
        .value_kind:     by_value
      - .offset:         52
        .size:           4
        .value_kind:     by_value
      - .offset:         56
        .size:           4
        .value_kind:     by_value
      - .offset:         60
        .size:           4
        .value_kind:     by_value
      - .offset:         64
        .size:           4
        .value_kind:     by_value
      - .offset:         68
        .size:           4
        .value_kind:     by_value
      - .offset:         72
        .size:           4
        .value_kind:     by_value
      - .offset:         76
        .size:           4
        .value_kind:     by_value
      - .offset:         80
        .size:           4
        .value_kind:     by_value
      - .offset:         84
        .size:           4
        .value_kind:     by_value
      - .offset:         88
        .size:           4
        .value_kind:     by_value
      - .address_space:  global
        .offset:         96
        .size:           8
        .value_kind:     global_buffer
      - .offset:         104
        .size:           4
        .value_kind:     hidden_block_count_x
      - .offset:         108
        .size:           4
        .value_kind:     hidden_block_count_y
      - .offset:         112
        .size:           4
        .value_kind:     hidden_block_count_z
      - .offset:         116
        .size:           2
        .value_kind:     hidden_group_size_x
      - .offset:         118
        .size:           2
        .value_kind:     hidden_group_size_y
      - .offset:         120
        .size:           2
        .value_kind:     hidden_group_size_z
      - .offset:         122
        .size:           2
        .value_kind:     hidden_remainder_x
      - .offset:         124
        .size:           2
        .value_kind:     hidden_remainder_y
      - .offset:         126
        .size:           2
        .value_kind:     hidden_remainder_z
      - .offset:         144
        .size:           8
        .value_kind:     hidden_global_offset_x
      - .offset:         152
        .size:           8
        .value_kind:     hidden_global_offset_y
      - .offset:         160
        .size:           8
        .value_kind:     hidden_global_offset_z
      - .offset:         168
        .size:           2
        .value_kind:     hidden_grid_dims
    .group_segment_fixed_size: 0
    .kernarg_segment_align: 8
    .kernarg_segment_size: 360
    .language:       OpenCL C
    .language_version:
      - 2
      - 0
    .max_flat_workgroup_size: 1024
    .name:           _ZN2at6native13vol2im_kernelIN3c108BFloat16ES3_EEvlPKT_jjjjjjjjjjjjjjjjjjjPS4_
    .private_segment_fixed_size: 0
    .sgpr_count:     72
    .sgpr_spill_count: 0
    .symbol:         _ZN2at6native13vol2im_kernelIN3c108BFloat16ES3_EEvlPKT_jjjjjjjjjjjjjjjjjjjPS4_.kd
    .uniform_work_group_size: 1
    .uses_dynamic_stack: false
    .vgpr_count:     38
    .vgpr_spill_count: 0
    .wavefront_size: 32
  - .args:
      - .offset:         0
        .size:           8
        .value_kind:     by_value
      - .address_space:  global
        .offset:         8
        .size:           8
        .value_kind:     global_buffer
      - .offset:         16
        .size:           8
        .value_kind:     by_value
      - .offset:         24
        .size:           8
        .value_kind:     by_value
      - .offset:         32
        .size:           8
        .value_kind:     by_value
      - .offset:         40
        .size:           8
        .value_kind:     by_value
      - .offset:         48
        .size:           8
        .value_kind:     by_value
      - .offset:         56
        .size:           8
        .value_kind:     by_value
      - .offset:         64
        .size:           8
        .value_kind:     by_value
      - .offset:         72
        .size:           8
        .value_kind:     by_value
      - .offset:         80
        .size:           8
        .value_kind:     by_value
      - .offset:         88
        .size:           8
        .value_kind:     by_value
      - .offset:         96
        .size:           8
        .value_kind:     by_value
      - .offset:         104
        .size:           8
        .value_kind:     by_value
      - .address_space:  global
        .offset:         112
        .size:           8
        .value_kind:     global_buffer
      - .offset:         120
        .size:           4
        .value_kind:     hidden_block_count_x
      - .offset:         124
        .size:           4
        .value_kind:     hidden_block_count_y
      - .offset:         128
        .size:           4
        .value_kind:     hidden_block_count_z
      - .offset:         132
        .size:           2
        .value_kind:     hidden_group_size_x
      - .offset:         134
        .size:           2
        .value_kind:     hidden_group_size_y
      - .offset:         136
        .size:           2
        .value_kind:     hidden_group_size_z
      - .offset:         138
        .size:           2
        .value_kind:     hidden_remainder_x
      - .offset:         140
        .size:           2
        .value_kind:     hidden_remainder_y
      - .offset:         142
        .size:           2
        .value_kind:     hidden_remainder_z
      - .offset:         160
        .size:           8
        .value_kind:     hidden_global_offset_x
      - .offset:         168
        .size:           8
        .value_kind:     hidden_global_offset_y
      - .offset:         176
        .size:           8
        .value_kind:     hidden_global_offset_z
      - .offset:         184
        .size:           2
        .value_kind:     hidden_grid_dims
    .group_segment_fixed_size: 0
    .kernarg_segment_align: 8
    .kernarg_segment_size: 376
    .language:       OpenCL C
    .language_version:
      - 2
      - 0
    .max_flat_workgroup_size: 512
    .name:           _ZN2at6native13col2im_kernelIN3c108BFloat16ES3_EEvlPKT_llllllllllllPS4_
    .private_segment_fixed_size: 0
    .sgpr_count:     75
    .sgpr_spill_count: 0
    .symbol:         _ZN2at6native13col2im_kernelIN3c108BFloat16ES3_EEvlPKT_llllllllllllPS4_.kd
    .uniform_work_group_size: 1
    .uses_dynamic_stack: false
    .vgpr_count:     46
    .vgpr_spill_count: 0
    .wavefront_size: 32
amdhsa.target:   amdgcn-amd-amdhsa--gfx1250
amdhsa.version:
  - 1
  - 2
...

	.end_amdgpu_metadata
